;; amdgpu-corpus repo=ROCm/rocFFT kind=compiled arch=gfx906 opt=O3
	.text
	.amdgcn_target "amdgcn-amd-amdhsa--gfx906"
	.amdhsa_code_object_version 6
	.protected	bluestein_single_back_len936_dim1_dp_op_CI_CI ; -- Begin function bluestein_single_back_len936_dim1_dp_op_CI_CI
	.globl	bluestein_single_back_len936_dim1_dp_op_CI_CI
	.p2align	8
	.type	bluestein_single_back_len936_dim1_dp_op_CI_CI,@function
bluestein_single_back_len936_dim1_dp_op_CI_CI: ; @bluestein_single_back_len936_dim1_dp_op_CI_CI
; %bb.0:
	v_mul_u32_u24_e32 v1, 0x349, v0
	s_mov_b64 s[54:55], s[2:3]
	s_load_dwordx4 s[16:19], s[4:5], 0x28
	v_lshrrev_b32_e32 v1, 16, v1
	s_mov_b64 s[52:53], s[0:1]
	v_mad_u64_u32 v[236:237], s[0:1], s6, 3, v[1:2]
	v_mov_b32_e32 v237, 0
	s_add_u32 s52, s52, s7
	s_waitcnt lgkmcnt(0)
	v_cmp_gt_u64_e32 vcc, s[16:17], v[236:237]
	s_addc_u32 s53, s53, 0
	s_and_saveexec_b64 s[0:1], vcc
	s_cbranch_execz .LBB0_10
; %bb.1:
	s_load_dwordx4 s[0:3], s[4:5], 0x18
	s_load_dwordx4 s[12:15], s[4:5], 0x0
	v_mul_lo_u16_e32 v1, 0x4e, v1
	v_sub_u16_e32 v255, v0, v1
	v_lshlrev_b32_e32 v32, 4, v255
	s_waitcnt lgkmcnt(0)
	s_load_dwordx4 s[8:11], s[0:1], 0x0
	s_movk_i32 s6, 0x1000
	v_lshlrev_b32_e32 v232, 1, v255
	s_waitcnt lgkmcnt(0)
	v_mad_u64_u32 v[0:1], s[0:1], s10, v236, 0
	v_mad_u64_u32 v[2:3], s[0:1], s8, v255, 0
	s_mul_hi_u32 s7, s8, 0xffffe7a0
	s_sub_i32 s7, s7, s8
	v_mad_u64_u32 v[4:5], s[0:1], s11, v236, v[1:2]
	v_mad_u64_u32 v[5:6], s[0:1], s9, v255, v[3:4]
	v_mov_b32_e32 v1, v4
	v_lshlrev_b64 v[0:1], 4, v[0:1]
	v_mov_b32_e32 v3, v5
	v_mov_b32_e32 v6, s19
	v_lshlrev_b64 v[2:3], 4, v[2:3]
	v_add_co_u32_e32 v0, vcc, s18, v0
	v_addc_co_u32_e32 v1, vcc, v6, v1, vcc
	v_add_co_u32_e32 v8, vcc, v0, v2
	v_addc_co_u32_e32 v9, vcc, v1, v3, vcc
	v_mov_b32_e32 v0, s13
	v_add_co_u32_e32 v22, vcc, s12, v32
	s_mul_i32 s0, s9, 0x1d40
	s_mul_hi_u32 s1, s8, 0x1d40
	v_addc_co_u32_e32 v23, vcc, 0, v0, vcc
	s_add_i32 s0, s1, s0
	s_mul_i32 s1, s8, 0x1d40
	v_mov_b32_e32 v0, s0
	v_add_co_u32_e32 v10, vcc, s1, v8
	v_addc_co_u32_e32 v11, vcc, v9, v0, vcc
	v_add_co_u32_e32 v16, vcc, s6, v22
	s_mul_i32 s6, s9, 0xffffe7a0
	v_addc_co_u32_e32 v17, vcc, 0, v23, vcc
	s_add_i32 s6, s7, s6
	s_mul_i32 s7, s8, 0xffffe7a0
	global_load_dwordx4 v[0:3], v[8:9], off
	global_load_dwordx4 v[4:7], v[10:11], off
	v_mov_b32_e32 v8, s6
	v_add_co_u32_e32 v18, vcc, s7, v10
	v_addc_co_u32_e32 v19, vcc, v11, v8, vcc
	v_mov_b32_e32 v8, s0
	v_add_co_u32_e32 v20, vcc, s1, v18
	v_addc_co_u32_e32 v21, vcc, v19, v8, vcc
	s_movk_i32 s8, 0x2000
	global_load_dwordx4 v[34:37], v[16:17], off offset:3392
	global_load_dwordx4 v[112:115], v32, s[12:13]
	global_load_dwordx4 v[92:95], v32, s[12:13] offset:1248
	global_load_dwordx4 v[8:11], v[18:19], off
	global_load_dwordx4 v[12:15], v[20:21], off
	v_add_co_u32_e32 v18, vcc, s8, v22
	v_addc_co_u32_e32 v19, vcc, 0, v23, vcc
	global_load_dwordx4 v[96:99], v[18:19], off offset:544
	v_mov_b32_e32 v24, s6
	v_add_co_u32_e32 v20, vcc, s7, v20
	v_addc_co_u32_e32 v21, vcc, v21, v24, vcc
	global_load_dwordx4 v[48:51], v[20:21], off
	v_mov_b32_e32 v24, s0
	v_add_co_u32_e32 v20, vcc, s1, v20
	v_addc_co_u32_e32 v21, vcc, v21, v24, vcc
	global_load_dwordx4 v[52:55], v[20:21], off
	global_load_dwordx4 v[42:45], v[18:19], off offset:1792
	v_mov_b32_e32 v24, s6
	v_add_co_u32_e32 v20, vcc, s7, v20
	v_addc_co_u32_e32 v21, vcc, v21, v24, vcc
	global_load_dwordx4 v[56:59], v[20:21], off
	global_load_dwordx4 v[108:111], v32, s[12:13] offset:2496
	global_load_dwordx4 v[88:91], v32, s[12:13] offset:3744
	v_mov_b32_e32 v24, s0
	v_add_co_u32_e32 v20, vcc, s1, v20
	v_addc_co_u32_e32 v21, vcc, v21, v24, vcc
	global_load_dwordx4 v[60:63], v[20:21], off
	global_load_dwordx4 v[84:87], v[18:19], off offset:3040
	v_mov_b32_e32 v19, s6
	v_add_co_u32_e32 v18, vcc, s7, v20
	v_addc_co_u32_e32 v19, vcc, v21, v19, vcc
	global_load_dwordx4 v[64:67], v[18:19], off
	v_mov_b32_e32 v20, s0
	v_add_co_u32_e32 v18, vcc, s1, v18
	v_addc_co_u32_e32 v19, vcc, v19, v20, vcc
	s_movk_i32 s8, 0x3000
	v_add_co_u32_e32 v20, vcc, s8, v22
	v_addc_co_u32_e32 v21, vcc, 0, v23, vcc
	global_load_dwordx4 v[68:71], v[18:19], off
	v_mov_b32_e32 v22, s6
	v_add_co_u32_e32 v18, vcc, s7, v18
	v_addc_co_u32_e32 v19, vcc, v19, v22, vcc
	global_load_dwordx4 v[38:41], v[20:21], off offset:192
	global_load_dwordx4 v[72:75], v[18:19], off
	global_load_dwordx4 v[104:107], v[16:17], off offset:896
	global_load_dwordx4 v[80:83], v[16:17], off offset:2144
	v_mov_b32_e32 v17, s0
	v_add_co_u32_e32 v16, vcc, s1, v18
	v_addc_co_u32_e32 v17, vcc, v19, v17, vcc
	s_mov_b32 s1, 0xaaaaaaab
	global_load_dwordx4 v[76:79], v[16:17], off
	global_load_dwordx4 v[100:103], v[20:21], off offset:1440
	v_mul_hi_u32 v20, v236, s1
	s_load_dwordx4 s[8:11], s[2:3], 0x0
	s_movk_i32 s0, 0x4e
	s_load_dwordx2 s[2:3], s[4:5], 0x38
	v_lshrrev_b32_e32 v20, 1, v20
	v_lshl_add_u32 v20, v20, 1, v20
	v_sub_u32_e32 v20, v236, v20
	v_mul_u32_u24_e32 v33, 0x3a8, v20
	s_waitcnt vmcnt(20)
	v_mul_f64 v[16:17], v[2:3], v[114:115]
	v_mul_f64 v[20:21], v[6:7], v[36:37]
	s_waitcnt vmcnt(18)
	v_mul_f64 v[24:25], v[10:11], v[94:95]
	v_mul_f64 v[18:19], v[0:1], v[114:115]
	v_mul_f64 v[22:23], v[4:5], v[36:37]
	v_mul_f64 v[26:27], v[8:9], v[94:95]
	s_waitcnt vmcnt(16)
	v_mul_f64 v[28:29], v[14:15], v[98:99]
	v_fma_f64 v[0:1], v[0:1], v[112:113], v[16:17]
	buffer_store_dword v112, off, s[52:55], 0 offset:176 ; 4-byte Folded Spill
	s_nop 0
	buffer_store_dword v113, off, s[52:55], 0 offset:180 ; 4-byte Folded Spill
	buffer_store_dword v114, off, s[52:55], 0 offset:184 ; 4-byte Folded Spill
	;; [unrolled: 1-line block ×3, first 2 shown]
	v_fma_f64 v[4:5], v[4:5], v[34:35], v[20:21]
	buffer_store_dword v34, off, s[52:55], 0 ; 4-byte Folded Spill
	s_nop 0
	buffer_store_dword v35, off, s[52:55], 0 offset:4 ; 4-byte Folded Spill
	buffer_store_dword v36, off, s[52:55], 0 offset:8 ; 4-byte Folded Spill
	;; [unrolled: 1-line block ×3, first 2 shown]
	v_fma_f64 v[8:9], v[8:9], v[92:93], v[24:25]
	buffer_store_dword v92, off, s[52:55], 0 offset:96 ; 4-byte Folded Spill
	s_nop 0
	buffer_store_dword v93, off, s[52:55], 0 offset:100 ; 4-byte Folded Spill
	buffer_store_dword v94, off, s[52:55], 0 offset:104 ; 4-byte Folded Spill
	;; [unrolled: 1-line block ×3, first 2 shown]
	v_mul_f64 v[30:31], v[12:13], v[98:99]
	v_fma_f64 v[12:13], v[12:13], v[96:97], v[28:29]
	buffer_store_dword v96, off, s[52:55], 0 offset:112 ; 4-byte Folded Spill
	s_nop 0
	buffer_store_dword v97, off, s[52:55], 0 offset:116 ; 4-byte Folded Spill
	buffer_store_dword v98, off, s[52:55], 0 offset:120 ; 4-byte Folded Spill
	;; [unrolled: 1-line block ×3, first 2 shown]
	v_lshlrev_b32_e32 v17, 4, v33
	v_add_u32_e32 v16, v32, v17
	v_lshl_add_u32 v224, v255, 5, v17
	v_and_b32_e32 v36, 1, v255
	v_fma_f64 v[2:3], v[2:3], v[112:113], -v[18:19]
	v_add_co_u32_e32 v19, vcc, s0, v255
	v_fma_f64 v[6:7], v[6:7], v[34:35], -v[22:23]
	v_fma_f64 v[10:11], v[10:11], v[92:93], -v[26:27]
	ds_write_b128 v16, v[0:3]
	ds_write_b128 v16, v[4:7] offset:7488
	v_fma_f64 v[14:15], v[14:15], v[96:97], -v[30:31]
	ds_write_b128 v16, v[8:11] offset:1248
	ds_write_b128 v16, v[12:15] offset:8736
	s_waitcnt vmcnt(27)
	v_mul_f64 v[0:1], v[50:51], v[110:111]
	v_mul_f64 v[4:5], v[54:55], v[44:45]
	s_waitcnt vmcnt(26)
	v_mul_f64 v[8:9], v[58:59], v[90:91]
	s_waitcnt vmcnt(24)
	v_mul_f64 v[12:13], v[62:63], v[86:87]
	v_mul_f64 v[2:3], v[48:49], v[110:111]
	;; [unrolled: 1-line block ×5, first 2 shown]
	v_fma_f64 v[0:1], v[48:49], v[108:109], v[0:1]
	buffer_store_dword v108, off, s[52:55], 0 offset:160 ; 4-byte Folded Spill
	s_nop 0
	buffer_store_dword v109, off, s[52:55], 0 offset:164 ; 4-byte Folded Spill
	buffer_store_dword v110, off, s[52:55], 0 offset:168 ; 4-byte Folded Spill
	buffer_store_dword v111, off, s[52:55], 0 offset:172 ; 4-byte Folded Spill
	v_fma_f64 v[4:5], v[52:53], v[42:43], v[4:5]
	buffer_store_dword v42, off, s[52:55], 0 offset:32 ; 4-byte Folded Spill
	s_nop 0
	buffer_store_dword v43, off, s[52:55], 0 offset:36 ; 4-byte Folded Spill
	buffer_store_dword v44, off, s[52:55], 0 offset:40 ; 4-byte Folded Spill
	buffer_store_dword v45, off, s[52:55], 0 offset:44 ; 4-byte Folded Spill
	;; [unrolled: 6-line block ×4, first 2 shown]
	s_movk_i32 s0, 0x9c
	v_add_co_u32_e64 v253, s[0:1], s0, v255
	s_movk_i32 s0, 0xea
	v_add_co_u32_e64 v18, s[0:1], s0, v255
	s_movk_i32 s0, 0x138
	v_add_co_u32_e64 v251, s[0:1], s0, v255
	s_movk_i32 s0, 0x186
	v_add_co_u32_e64 v250, s[0:1], s0, v255
	v_lshl_add_u32 v226, v19, 5, v17
	v_lshl_add_u32 v225, v253, 5, v17
	;; [unrolled: 1-line block ×5, first 2 shown]
	v_addc_co_u32_e64 v231, s[0:1], 0, 0, vcc
	s_movk_i32 s0, 0xfc
	v_lshlrev_b32_e32 v230, 1, v19
	v_lshlrev_b32_e32 v37, 1, v253
	v_fma_f64 v[2:3], v[50:51], v[108:109], -v[2:3]
	v_fma_f64 v[6:7], v[54:55], v[42:43], -v[6:7]
	ds_write_b128 v16, v[0:3] offset:2496
	ds_write_b128 v16, v[4:7] offset:9984
	v_fma_f64 v[10:11], v[58:59], v[88:89], -v[10:11]
	v_fma_f64 v[14:15], v[62:63], v[84:85], -v[14:15]
	ds_write_b128 v16, v[8:11] offset:3744
	ds_write_b128 v16, v[12:15] offset:11232
	s_waitcnt vmcnt(35)
	v_mul_f64 v[0:1], v[66:67], v[106:107]
	v_mul_f64 v[4:5], v[70:71], v[40:41]
	s_waitcnt vmcnt(34)
	v_mul_f64 v[8:9], v[74:75], v[82:83]
	s_waitcnt vmcnt(32)
	v_mul_f64 v[12:13], v[78:79], v[102:103]
	v_mul_f64 v[2:3], v[64:65], v[106:107]
	;; [unrolled: 1-line block ×5, first 2 shown]
	v_fma_f64 v[0:1], v[64:65], v[104:105], v[0:1]
	buffer_store_dword v104, off, s[52:55], 0 offset:144 ; 4-byte Folded Spill
	s_nop 0
	buffer_store_dword v105, off, s[52:55], 0 offset:148 ; 4-byte Folded Spill
	buffer_store_dword v106, off, s[52:55], 0 offset:152 ; 4-byte Folded Spill
	buffer_store_dword v107, off, s[52:55], 0 offset:156 ; 4-byte Folded Spill
	v_fma_f64 v[4:5], v[68:69], v[38:39], v[4:5]
	buffer_store_dword v38, off, s[52:55], 0 offset:16 ; 4-byte Folded Spill
	s_nop 0
	buffer_store_dword v39, off, s[52:55], 0 offset:20 ; 4-byte Folded Spill
	buffer_store_dword v40, off, s[52:55], 0 offset:24 ; 4-byte Folded Spill
	buffer_store_dword v41, off, s[52:55], 0 offset:28 ; 4-byte Folded Spill
	;; [unrolled: 6-line block ×4, first 2 shown]
	v_lshlrev_b32_e32 v40, 1, v250
	v_fma_f64 v[2:3], v[66:67], v[104:105], -v[2:3]
	v_fma_f64 v[6:7], v[70:71], v[38:39], -v[6:7]
	ds_write_b128 v16, v[0:3] offset:4992
	ds_write_b128 v16, v[4:7] offset:12480
	v_fma_f64 v[10:11], v[74:75], v[80:81], -v[10:11]
	v_fma_f64 v[14:15], v[78:79], v[100:101], -v[14:15]
	ds_write_b128 v16, v[8:11] offset:6240
	ds_write_b128 v16, v[12:15] offset:13728
	s_waitcnt vmcnt(0) lgkmcnt(0)
	s_barrier
	ds_read_b128 v[0:3], v16
	ds_read_b128 v[4:7], v16 offset:1248
	ds_read_b128 v[8:11], v16 offset:7488
	;; [unrolled: 1-line block ×11, first 2 shown]
	s_waitcnt lgkmcnt(9)
	v_add_f64 v[8:9], v[0:1], -v[8:9]
	v_add_f64 v[10:11], v[2:3], -v[10:11]
	s_waitcnt lgkmcnt(8)
	v_add_f64 v[12:13], v[4:5], -v[12:13]
	v_add_f64 v[14:15], v[6:7], -v[14:15]
	s_waitcnt lgkmcnt(5)
	v_add_f64 v[56:57], v[48:49], -v[56:57]
	v_add_f64 v[58:59], v[50:51], -v[58:59]
	s_waitcnt lgkmcnt(4)
	v_add_f64 v[60:61], v[52:53], -v[60:61]
	v_add_f64 v[62:63], v[54:55], -v[62:63]
	s_waitcnt lgkmcnt(1)
	v_add_f64 v[72:73], v[64:65], -v[72:73]
	v_add_f64 v[74:75], v[66:67], -v[74:75]
	s_waitcnt lgkmcnt(0)
	v_add_f64 v[76:77], v[68:69], -v[76:77]
	v_add_f64 v[78:79], v[70:71], -v[78:79]
	v_fma_f64 v[0:1], v[0:1], 2.0, -v[8:9]
	v_fma_f64 v[2:3], v[2:3], 2.0, -v[10:11]
	;; [unrolled: 1-line block ×12, first 2 shown]
	s_barrier
	ds_write_b128 v224, v[0:3]
	ds_write_b128 v224, v[8:11] offset:16
	v_lshlrev_b32_e32 v0, 4, v36
	ds_write_b128 v226, v[4:7]
	ds_write_b128 v226, v[12:15] offset:16
	ds_write_b128 v225, v[48:51]
	ds_write_b128 v225, v[56:59] offset:16
	;; [unrolled: 2-line block ×5, first 2 shown]
	s_waitcnt lgkmcnt(0)
	s_barrier
	global_load_dwordx4 v[136:139], v0, s[14:15]
	ds_read_b128 v[0:3], v16
	ds_read_b128 v[4:7], v16 offset:1248
	ds_read_b128 v[8:11], v16 offset:7488
	ds_read_b128 v[12:15], v16 offset:8736
	ds_read_b128 v[64:67], v16 offset:2496
	ds_read_b128 v[80:83], v16 offset:3744
	ds_read_b128 v[48:51], v16 offset:9984
	ds_read_b128 v[52:55], v16 offset:11232
	ds_read_b128 v[88:91], v16 offset:4992
	ds_read_b128 v[100:103], v16 offset:6240
	ds_read_b128 v[56:59], v16 offset:12480
	ds_read_b128 v[60:63], v16 offset:13728
	v_lshlrev_b32_e32 v38, 1, v18
	v_lshlrev_b32_e32 v39, 1, v251
	s_waitcnt vmcnt(0) lgkmcnt(0)
	s_barrier
	v_mul_f64 v[20:21], v[10:11], v[138:139]
	v_mul_f64 v[22:23], v[8:9], v[138:139]
	;; [unrolled: 1-line block ×8, first 2 shown]
	v_fma_f64 v[8:9], v[8:9], v[136:137], -v[20:21]
	v_fma_f64 v[10:11], v[10:11], v[136:137], v[22:23]
	v_fma_f64 v[12:13], v[12:13], v[136:137], -v[24:25]
	v_fma_f64 v[14:15], v[14:15], v[136:137], v[26:27]
	;; [unrolled: 2-line block ×4, first 2 shown]
	v_mul_f64 v[28:29], v[58:59], v[138:139]
	v_mul_f64 v[30:31], v[56:57], v[138:139]
	;; [unrolled: 1-line block ×4, first 2 shown]
	v_add_f64 v[68:69], v[0:1], -v[8:9]
	v_add_f64 v[70:71], v[2:3], -v[10:11]
	;; [unrolled: 1-line block ×4, first 2 shown]
	v_fma_f64 v[8:9], v[56:57], v[136:137], -v[28:29]
	v_fma_f64 v[10:11], v[58:59], v[136:137], v[30:31]
	v_fma_f64 v[12:13], v[60:61], v[136:137], -v[32:33]
	v_fma_f64 v[14:15], v[62:63], v[136:137], v[34:35]
	v_add_f64 v[60:61], v[64:65], -v[20:21]
	v_add_f64 v[62:63], v[66:67], -v[22:23]
	;; [unrolled: 1-line block ×8, first 2 shown]
	v_fma_f64 v[48:49], v[0:1], 2.0, -v[68:69]
	v_fma_f64 v[50:51], v[2:3], 2.0, -v[70:71]
	v_fma_f64 v[84:85], v[4:5], 2.0, -v[76:77]
	v_fma_f64 v[86:87], v[6:7], 2.0, -v[78:79]
	v_fma_f64 v[96:97], v[64:65], 2.0, -v[60:61]
	v_fma_f64 v[98:99], v[66:67], 2.0, -v[62:63]
	v_fma_f64 v[80:81], v[80:81], 2.0, -v[72:73]
	v_fma_f64 v[82:83], v[82:83], 2.0, -v[74:75]
	v_fma_f64 v[92:93], v[88:89], 2.0, -v[52:53]
	v_fma_f64 v[94:95], v[90:91], 2.0, -v[54:55]
	v_fma_f64 v[64:65], v[100:101], 2.0, -v[56:57]
	v_fma_f64 v[66:67], v[102:103], 2.0, -v[58:59]
	v_and_or_b32 v0, v232, s0, v36
	s_movk_i32 s0, 0x1fc
	v_lshl_add_u32 v245, v0, 4, v17
	v_and_or_b32 v0, v230, s0, v36
	s_movk_i32 s0, 0x3fc
	v_lshl_add_u32 v246, v0, 4, v17
	v_and_or_b32 v0, v37, s0, v36
	v_lshl_add_u32 v247, v0, 4, v17
	v_and_or_b32 v0, v38, s0, v36
	;; [unrolled: 2-line block ×3, first 2 shown]
	s_movk_i32 s0, 0x7fc
	v_lshl_add_u32 v254, v0, 4, v17
	v_and_or_b32 v0, v40, s0, v36
	s_movk_i32 s0, 0x48
	v_lshl_add_u32 v252, v0, 4, v17
	v_cmp_gt_u16_e32 vcc, s0, v255
	ds_write_b128 v245, v[48:51]
	ds_write_b128 v245, v[68:71] offset:32
	ds_write_b128 v246, v[84:87]
	ds_write_b128 v246, v[76:79] offset:32
	;; [unrolled: 2-line block ×6, first 2 shown]
	s_waitcnt lgkmcnt(0)
	s_barrier
	s_waitcnt lgkmcnt(0)
                                        ; implicit-def: $vgpr100_vgpr101
	s_and_saveexec_b64 s[0:1], vcc
	s_cbranch_execz .LBB0_3
; %bb.2:
	ds_read_b128 v[48:51], v16
	ds_read_b128 v[68:71], v16 offset:1152
	ds_read_b128 v[84:87], v16 offset:2304
	ds_read_b128 v[76:79], v16 offset:3456
	ds_read_b128 v[96:99], v16 offset:4608
	ds_read_b128 v[60:63], v16 offset:5760
	ds_read_b128 v[80:83], v16 offset:6912
	ds_read_b128 v[72:75], v16 offset:8064
	ds_read_b128 v[92:95], v16 offset:9216
	ds_read_b128 v[52:55], v16 offset:10368
	ds_read_b128 v[64:67], v16 offset:11520
	ds_read_b128 v[56:59], v16 offset:12672
	ds_read_b128 v[100:103], v16 offset:13824
.LBB0_3:
	s_or_b64 exec, exec, s[0:1]
	v_and_b32_e32 v0, 3, v255
	v_mul_u32_u24_e32 v0, 12, v0
	v_lshlrev_b32_e32 v22, 4, v0
	global_load_dwordx4 v[120:123], v22, s[14:15] offset:80
	global_load_dwordx4 v[116:119], v22, s[14:15] offset:64
	;; [unrolled: 1-line block ×12, first 2 shown]
	s_mov_b32 s20, 0x4267c47c
	s_mov_b32 s21, 0xbfddbe06
	;; [unrolled: 1-line block ×24, first 2 shown]
	s_waitcnt vmcnt(0) lgkmcnt(0)
	s_barrier
	v_mul_f64 v[2:3], v[96:97], v[122:123]
	v_mul_f64 v[0:1], v[70:71], v[90:91]
	;; [unrolled: 1-line block ×3, first 2 shown]
	v_fma_f64 v[2:3], v[98:99], v[120:121], v[2:3]
	v_fma_f64 v[12:13], v[68:69], v[88:89], -v[0:1]
	v_mul_f64 v[0:1], v[68:69], v[90:91]
	v_fma_f64 v[14:15], v[70:71], v[88:89], v[0:1]
	v_mul_f64 v[0:1], v[86:87], v[110:111]
	v_fma_f64 v[8:9], v[84:85], v[108:109], -v[0:1]
	v_mul_f64 v[0:1], v[84:85], v[110:111]
	v_fma_f64 v[84:85], v[60:61], v[148:149], -v[20:21]
	v_mul_f64 v[20:21], v[60:61], v[150:151]
	v_fma_f64 v[10:11], v[86:87], v[108:109], v[0:1]
	v_mul_f64 v[0:1], v[78:79], v[118:119]
	v_fma_f64 v[86:87], v[62:63], v[148:149], v[20:21]
	v_mul_f64 v[20:21], v[82:83], v[146:147]
	v_fma_f64 v[4:5], v[76:77], v[116:117], -v[0:1]
	v_mul_f64 v[0:1], v[76:77], v[118:119]
	v_fma_f64 v[6:7], v[78:79], v[116:117], v[0:1]
	v_fma_f64 v[78:79], v[80:81], v[144:145], -v[20:21]
	v_mul_f64 v[20:21], v[80:81], v[146:147]
	v_mul_f64 v[0:1], v[98:99], v[122:123]
	v_fma_f64 v[80:81], v[82:83], v[144:145], v[20:21]
	v_mul_f64 v[20:21], v[74:75], v[142:143]
	v_fma_f64 v[0:1], v[96:97], v[120:121], -v[0:1]
	v_fma_f64 v[76:77], v[72:73], v[140:141], -v[20:21]
	v_mul_f64 v[20:21], v[72:73], v[142:143]
	v_add_f64 v[196:197], v[78:79], v[76:77]
	v_fma_f64 v[72:73], v[74:75], v[140:141], v[20:21]
	v_mul_f64 v[20:21], v[94:95], v[134:135]
	v_add_f64 v[208:209], v[78:79], -v[76:77]
	v_add_f64 v[210:211], v[80:81], -v[72:73]
	v_fma_f64 v[68:69], v[92:93], v[132:133], -v[20:21]
	v_mul_f64 v[20:21], v[92:93], v[134:135]
	v_add_f64 v[218:219], v[80:81], v[72:73]
	v_mul_f64 v[222:223], v[208:209], s[30:31]
	v_mul_f64 v[220:221], v[210:211], s[30:31]
	v_add_f64 v[184:185], v[84:85], v[68:69]
	v_fma_f64 v[70:71], v[94:95], v[132:133], v[20:21]
	v_mul_f64 v[20:21], v[54:55], v[162:163]
	v_add_f64 v[202:203], v[84:85], -v[68:69]
	v_add_f64 v[204:205], v[86:87], -v[70:71]
	v_fma_f64 v[96:97], v[52:53], v[160:161], -v[20:21]
	v_mul_f64 v[20:21], v[52:53], v[162:163]
	v_add_f64 v[216:217], v[86:87], v[70:71]
	v_mul_f64 v[200:201], v[202:203], s[34:35]
	;; [unrolled: 10-line block ×5, first 2 shown]
	v_mul_f64 v[30:31], v[166:167], s[22:23]
	v_add_f64 v[100:101], v[12:13], v[64:65]
	v_fma_f64 v[66:67], v[102:103], v[112:113], v[20:21]
	v_add_f64 v[154:155], v[12:13], -v[64:65]
	v_fma_f64 v[24:25], v[104:105], s[4:5], v[30:31]
	v_add_f64 v[168:169], v[14:15], -v[66:67]
	v_add_f64 v[180:181], v[14:15], v[66:67]
	v_mul_f64 v[28:29], v[154:155], s[20:21]
	v_mul_f64 v[26:27], v[168:169], s[20:21]
	v_fma_f64 v[22:23], v[180:181], s[0:1], -v[28:29]
	v_fma_f64 v[20:21], v[100:101], s[0:1], v[26:27]
	v_add_f64 v[22:23], v[50:51], v[22:23]
	v_add_f64 v[20:21], v[48:49], v[20:21]
	;; [unrolled: 1-line block ×3, first 2 shown]
	v_fma_f64 v[24:25], v[206:207], s[4:5], -v[32:33]
	v_add_f64 v[22:23], v[24:25], v[22:23]
	v_fma_f64 v[24:25], v[156:157], s[6:7], v[170:171]
	v_add_f64 v[20:21], v[24:25], v[20:21]
	v_fma_f64 v[24:25], v[212:213], s[6:7], -v[174:175]
	v_add_f64 v[22:23], v[24:25], v[22:23]
	v_fma_f64 v[24:25], v[172:173], s[16:17], v[182:183]
	v_add_f64 v[20:21], v[24:25], v[20:21]
	;; [unrolled: 4-line block ×4, first 2 shown]
	v_fma_f64 v[20:21], v[218:219], s[26:27], -v[222:223]
	v_add_f64 v[190:191], v[20:21], v[22:23]
	s_and_saveexec_b64 s[36:37], vcc
	s_cbranch_execz .LBB0_5
; %bb.4:
	v_mul_f64 v[20:21], v[100:101], s[0:1]
	v_mul_f64 v[22:23], v[104:105], s[4:5]
	;; [unrolled: 1-line block ×3, first 2 shown]
	s_mov_b32 s39, 0x3fcea1e5
	s_mov_b32 s38, s30
	v_mul_f64 v[52:53], v[168:169], s[30:31]
	s_mov_b32 s43, 0x3fe5384d
	s_mov_b32 s42, s34
	buffer_store_dword v20, off, s[52:55], 0 offset:200 ; 4-byte Folded Spill
	s_nop 0
	buffer_store_dword v21, off, s[52:55], 0 offset:204 ; 4-byte Folded Spill
	v_mul_f64 v[20:21], v[180:181], s[0:1]
	s_mov_b32 s41, 0x3fddbe06
	s_mov_b32 s40, s20
	v_mul_f64 v[60:61], v[178:179], s[34:35]
	v_fma_f64 v[56:57], v[100:101], s[26:27], v[52:53]
	v_fma_f64 v[52:53], v[100:101], s[26:27], -v[52:53]
	s_mov_b32 s49, 0x3fea55e2
	s_mov_b32 s48, s22
	buffer_store_dword v20, off, s[52:55], 0 offset:208 ; 4-byte Folded Spill
	s_nop 0
	buffer_store_dword v21, off, s[52:55], 0 offset:212 ; 4-byte Folded Spill
	buffer_store_dword v22, off, s[52:55], 0 offset:272 ; 4-byte Folded Spill
	s_nop 0
	buffer_store_dword v23, off, s[52:55], 0 offset:276 ; 4-byte Folded Spill
	buffer_store_dword v245, off, s[52:55], 0 offset:196 ; 4-byte Folded Spill
	v_mul_f64 v[22:23], v[206:207], s[4:5]
	v_mul_f64 v[20:21], v[180:181], s[26:27]
	v_add_f64 v[56:57], v[48:49], v[56:57]
	v_mov_b32_e32 v249, v248
	v_add_f64 v[38:39], v[48:49], v[52:53]
	s_mov_b32 s47, 0x3fedeba7
	s_mov_b32 s46, s24
	buffer_store_dword v22, off, s[52:55], 0 offset:280 ; 4-byte Folded Spill
	s_nop 0
	buffer_store_dword v23, off, s[52:55], 0 offset:284 ; 4-byte Folded Spill
	v_mul_f64 v[22:23], v[156:157], s[6:7]
	v_fma_f64 v[24:25], v[154:155], s[38:39], v[20:21]
	v_fma_f64 v[20:21], v[154:155], s[30:31], v[20:21]
	s_mov_b32 s45, 0x3fefc445
	s_mov_b32 s44, s28
	v_mul_f64 v[42:43], v[178:179], s[22:23]
	v_mul_f64 v[44:45], v[214:215], s[26:27]
	buffer_store_dword v22, off, s[52:55], 0 offset:248 ; 4-byte Folded Spill
	s_nop 0
	buffer_store_dword v23, off, s[52:55], 0 offset:252 ; 4-byte Folded Spill
	v_mul_f64 v[22:23], v[212:213], s[6:7]
	v_add_f64 v[24:25], v[50:51], v[24:25]
	v_add_f64 v[20:21], v[50:51], v[20:21]
	v_mul_f64 v[102:103], v[194:195], s[38:39]
	v_mov_b32_e32 v153, v224
	v_mov_b32_e32 v245, v225
	v_fma_f64 v[224:225], v[156:157], s[4:5], v[42:43]
	buffer_store_dword v22, off, s[52:55], 0 offset:264 ; 4-byte Folded Spill
	s_nop 0
	buffer_store_dword v23, off, s[52:55], 0 offset:268 ; 4-byte Folded Spill
	buffer_store_dword v34, off, s[52:55], 0 offset:240 ; 4-byte Folded Spill
	s_nop 0
	buffer_store_dword v35, off, s[52:55], 0 offset:244 ; 4-byte Folded Spill
	v_mul_f64 v[34:35], v[214:215], s[16:17]
	v_mul_f64 v[22:23], v[206:207], s[0:1]
	v_mov_b32_e32 v106, v226
	v_mov_b32_e32 v107, v227
	v_fma_f64 v[226:227], v[172:173], s[26:27], v[102:103]
	v_fma_f64 v[42:43], v[156:157], s[4:5], -v[42:43]
	buffer_store_dword v34, off, s[52:55], 0 offset:256 ; 4-byte Folded Spill
	s_nop 0
	buffer_store_dword v35, off, s[52:55], 0 offset:260 ; 4-byte Folded Spill
	v_mul_f64 v[34:35], v[184:185], s[18:19]
	v_mul_f64 v[40:41], v[218:219], s[16:17]
	v_fma_f64 v[102:103], v[172:173], s[26:27], -v[102:103]
	v_mov_b32_e32 v152, v228
	v_mov_b32_e32 v243, v229
	v_mul_f64 v[228:229], v[214:215], s[6:7]
	buffer_store_dword v34, off, s[52:55], 0 offset:224 ; 4-byte Folded Spill
	s_nop 0
	buffer_store_dword v35, off, s[52:55], 0 offset:228 ; 4-byte Folded Spill
	v_mul_f64 v[34:35], v[216:217], s[18:19]
	v_mov_b32_e32 v244, v230
	v_mov_b32_e32 v158, v231
	;; [unrolled: 1-line block ×3, first 2 shown]
	v_mul_f64 v[237:238], v[178:179], s[46:47]
	v_add_f64 v[12:13], v[48:49], v[12:13]
	buffer_store_dword v34, off, s[52:55], 0 offset:232 ; 4-byte Folded Spill
	s_nop 0
	buffer_store_dword v35, off, s[52:55], 0 offset:236 ; 4-byte Folded Spill
	v_mul_f64 v[34:35], v[196:197], s[26:27]
	v_add_f64 v[14:15], v[50:51], v[14:15]
	buffer_store_dword v34, off, s[52:55], 0 offset:216 ; 4-byte Folded Spill
	s_nop 0
	buffer_store_dword v35, off, s[52:55], 0 offset:220 ; 4-byte Folded Spill
	buffer_store_dword v26, off, s[52:55], 0 offset:296 ; 4-byte Folded Spill
	s_nop 0
	buffer_store_dword v27, off, s[52:55], 0 offset:300 ; 4-byte Folded Spill
	buffer_store_dword v28, off, s[52:55], 0 offset:312 ; 4-byte Folded Spill
	s_nop 0
	buffer_store_dword v29, off, s[52:55], 0 offset:316 ; 4-byte Folded Spill
	v_mul_f64 v[26:27], v[212:213], s[18:19]
	v_fma_f64 v[28:29], v[164:165], s[20:21], v[22:23]
	v_mul_f64 v[34:35], v[214:215], s[4:5]
	buffer_store_dword v30, off, s[52:55], 0 offset:288 ; 4-byte Folded Spill
	s_nop 0
	buffer_store_dword v31, off, s[52:55], 0 offset:292 ; 4-byte Folded Spill
	buffer_store_dword v32, off, s[52:55], 0 offset:304 ; 4-byte Folded Spill
	s_nop 0
	buffer_store_dword v33, off, s[52:55], 0 offset:308 ; 4-byte Folded Spill
	v_mul_f64 v[32:33], v[216:217], s[16:17]
	buffer_store_dword v252, off, s[52:55], 0 offset:192 ; 4-byte Folded Spill
	v_mov_b32_e32 v252, v246
	v_fma_f64 v[54:55], v[176:177], s[42:43], v[26:27]
	v_add_f64 v[24:25], v[28:29], v[24:25]
	v_mul_f64 v[28:29], v[166:167], s[40:41]
	v_fma_f64 v[58:59], v[192:193], s[22:23], v[34:35]
	v_mov_b32_e32 v246, v247
	v_mul_f64 v[247:248], v[194:195], s[48:49]
	v_fma_f64 v[22:23], v[164:165], s[40:41], v[22:23]
	v_mul_f64 v[30:31], v[218:219], s[6:7]
	v_fma_f64 v[26:27], v[176:177], s[34:35], v[26:27]
	v_add_f64 v[24:25], v[54:55], v[24:25]
	v_fma_f64 v[62:63], v[104:105], s[0:1], v[28:29]
	v_fma_f64 v[28:29], v[104:105], s[0:1], -v[28:29]
	v_fma_f64 v[54:55], v[202:203], s[46:47], v[32:33]
	v_fma_f64 v[36:37], v[172:173], s[4:5], v[247:248]
	v_add_f64 v[20:21], v[22:23], v[20:21]
	v_fma_f64 v[22:23], v[156:157], s[18:19], -v[60:61]
	v_fma_f64 v[34:35], v[192:193], s[48:49], v[34:35]
	v_add_f64 v[24:25], v[58:59], v[24:25]
	v_fma_f64 v[58:59], v[156:157], s[18:19], v[60:61]
	v_add_f64 v[56:57], v[62:63], v[56:57]
	v_mul_f64 v[62:63], v[204:205], s[24:25]
	v_add_f64 v[28:29], v[28:29], v[38:39]
	v_fma_f64 v[38:39], v[208:209], s[28:29], v[30:31]
	v_add_f64 v[20:21], v[26:27], v[20:21]
	v_fma_f64 v[26:27], v[172:173], s[4:5], -v[247:248]
	v_add_f64 v[24:25], v[54:55], v[24:25]
	v_mul_f64 v[60:61], v[216:217], s[0:1]
	v_add_f64 v[52:53], v[58:59], v[56:57]
	v_mul_f64 v[56:57], v[210:211], s[44:45]
	v_fma_f64 v[58:59], v[184:185], s[16:17], v[62:63]
	v_add_f64 v[22:23], v[22:23], v[28:29]
	v_add_f64 v[20:21], v[34:35], v[20:21]
	v_fma_f64 v[34:35], v[184:185], s[16:17], -v[62:63]
	v_add_f64 v[54:55], v[38:39], v[24:25]
	v_fma_f64 v[24:25], v[202:203], s[24:25], v[32:33]
	v_add_f64 v[36:37], v[36:37], v[52:53]
	v_fma_f64 v[52:53], v[196:197], s[6:7], v[56:57]
	v_mul_f64 v[32:33], v[180:181], s[18:19]
	v_add_f64 v[22:23], v[26:27], v[22:23]
	v_mul_f64 v[26:27], v[168:169], s[34:35]
	v_fma_f64 v[241:242], v[156:157], s[16:17], v[237:238]
	v_mul_f64 v[247:248], v[218:219], s[26:27]
	v_add_f64 v[20:21], v[24:25], v[20:21]
	v_add_f64 v[28:29], v[58:59], v[36:37]
	v_fma_f64 v[24:25], v[196:197], s[6:7], -v[56:57]
	v_fma_f64 v[36:37], v[154:155], s[42:43], v[32:33]
	v_add_f64 v[22:23], v[34:35], v[22:23]
	v_mul_f64 v[34:35], v[166:167], s[44:45]
	v_fma_f64 v[38:39], v[100:101], s[18:19], v[26:27]
	v_mul_f64 v[56:57], v[212:213], s[4:5]
	v_fma_f64 v[32:33], v[154:155], s[34:35], v[32:33]
	v_add_f64 v[52:53], v[52:53], v[28:29]
	v_fma_f64 v[28:29], v[208:209], s[44:45], v[30:31]
	v_mul_f64 v[30:31], v[206:207], s[6:7]
	v_add_f64 v[36:37], v[50:51], v[36:37]
	v_fma_f64 v[62:63], v[104:105], s[6:7], v[34:35]
	v_add_f64 v[38:39], v[48:49], v[38:39]
	v_fma_f64 v[26:27], v[100:101], s[18:19], -v[26:27]
	v_fma_f64 v[46:47], v[176:177], s[48:49], v[56:57]
	v_add_f64 v[32:33], v[50:51], v[32:33]
	v_fma_f64 v[34:35], v[104:105], s[6:7], -v[34:35]
	v_fma_f64 v[58:59], v[164:165], s[28:29], v[30:31]
	v_fma_f64 v[30:31], v[164:165], s[44:45], v[30:31]
	;; [unrolled: 1-line block ×3, first 2 shown]
	v_add_f64 v[38:39], v[62:63], v[38:39]
	v_add_f64 v[26:27], v[48:49], v[26:27]
	v_fma_f64 v[62:63], v[192:193], s[30:31], v[44:45]
	v_fma_f64 v[44:45], v[192:193], s[38:39], v[44:45]
	v_add_f64 v[8:9], v[12:13], v[8:9]
	v_add_f64 v[36:37], v[58:59], v[36:37]
	;; [unrolled: 1-line block ×3, first 2 shown]
	v_fma_f64 v[58:59], v[202:203], s[20:21], v[60:61]
	v_add_f64 v[38:39], v[224:225], v[38:39]
	v_add_f64 v[26:27], v[34:35], v[26:27]
	v_fma_f64 v[34:35], v[208:209], s[46:47], v[40:41]
	v_mul_f64 v[32:33], v[210:211], s[24:25]
	v_mul_f64 v[224:225], v[178:179], s[40:41]
	v_add_f64 v[36:37], v[46:47], v[36:37]
	v_mul_f64 v[46:47], v[204:205], s[40:41]
	v_add_f64 v[30:31], v[56:57], v[30:31]
	v_add_f64 v[38:39], v[226:227], v[38:39]
	;; [unrolled: 1-line block ×4, first 2 shown]
	v_fma_f64 v[56:57], v[196:197], s[16:17], v[32:33]
	v_fma_f64 v[232:233], v[156:157], s[0:1], v[224:225]
	v_add_f64 v[36:37], v[62:63], v[36:37]
	v_fma_f64 v[62:63], v[184:185], s[0:1], v[46:47]
	v_fma_f64 v[224:225], v[156:157], s[0:1], -v[224:225]
	v_fma_f64 v[32:33], v[196:197], s[16:17], -v[32:33]
	v_add_f64 v[10:11], v[14:15], v[10:11]
	v_add_f64 v[0:1], v[4:5], v[0:1]
	v_mul_f64 v[12:13], v[178:179], s[30:31]
	v_mul_f64 v[8:9], v[194:195], s[42:43]
	v_add_f64 v[36:37], v[58:59], v[36:37]
	v_add_f64 v[38:39], v[62:63], v[38:39]
	;; [unrolled: 1-line block ×3, first 2 shown]
	v_fma_f64 v[20:21], v[202:203], s[40:41], v[60:61]
	v_add_f64 v[28:29], v[44:45], v[30:31]
	v_add_f64 v[60:61], v[24:25], v[22:23]
	v_fma_f64 v[22:23], v[184:185], s[0:1], -v[46:47]
	v_add_f64 v[24:25], v[102:103], v[26:27]
	v_mul_f64 v[26:27], v[180:181], s[16:17]
	v_add_f64 v[58:59], v[34:35], v[36:37]
	v_mul_f64 v[36:37], v[206:207], s[18:19]
	v_fma_f64 v[30:31], v[208:209], s[24:25], v[40:41]
	v_add_f64 v[20:21], v[20:21], v[28:29]
	v_mul_f64 v[28:29], v[168:169], s[24:25]
	v_mul_f64 v[40:41], v[166:167], s[42:43]
	v_add_f64 v[24:25], v[22:23], v[24:25]
	v_fma_f64 v[22:23], v[154:155], s[46:47], v[26:27]
	v_fma_f64 v[26:27], v[154:155], s[24:25], v[26:27]
	v_mul_f64 v[46:47], v[212:213], s[0:1]
	v_fma_f64 v[102:103], v[164:165], s[34:35], v[36:37]
	v_fma_f64 v[36:37], v[164:165], s[42:43], v[36:37]
	;; [unrolled: 1-line block ×3, first 2 shown]
	v_fma_f64 v[28:29], v[100:101], s[16:17], -v[28:29]
	v_fma_f64 v[226:227], v[104:105], s[18:19], v[40:41]
	v_add_f64 v[22:23], v[50:51], v[22:23]
	v_add_f64 v[26:27], v[50:51], v[26:27]
	v_fma_f64 v[230:231], v[176:177], s[20:21], v[46:47]
	v_fma_f64 v[46:47], v[176:177], s[40:41], v[46:47]
	v_fma_f64 v[40:41], v[104:105], s[18:19], -v[40:41]
	v_add_f64 v[42:43], v[48:49], v[42:43]
	v_add_f64 v[28:29], v[48:49], v[28:29]
	v_mul_f64 v[34:35], v[216:217], s[26:27]
	v_add_f64 v[22:23], v[102:103], v[22:23]
	v_add_f64 v[26:27], v[36:37], v[26:27]
	v_mul_f64 v[102:103], v[194:195], s[28:29]
	v_add_f64 v[56:57], v[56:57], v[38:39]
	v_mul_f64 v[38:39], v[218:219], s[4:5]
	v_add_f64 v[42:43], v[226:227], v[42:43]
	v_fma_f64 v[226:227], v[192:193], s[44:45], v[228:229]
	v_fma_f64 v[228:229], v[192:193], s[28:29], v[228:229]
	v_add_f64 v[22:23], v[230:231], v[22:23]
	v_add_f64 v[26:27], v[46:47], v[26:27]
	;; [unrolled: 1-line block ×3, first 2 shown]
	v_fma_f64 v[44:45], v[202:203], s[30:31], v[34:35]
	v_mul_f64 v[36:37], v[204:205], s[38:39]
	v_fma_f64 v[230:231], v[172:173], s[6:7], v[102:103]
	v_fma_f64 v[34:35], v[202:203], s[38:39], v[34:35]
	v_fma_f64 v[102:103], v[172:173], s[6:7], -v[102:103]
	v_add_f64 v[22:23], v[226:227], v[22:23]
	v_add_f64 v[26:27], v[228:229], v[26:27]
	;; [unrolled: 1-line block ×3, first 2 shown]
	v_fma_f64 v[40:41], v[208:209], s[22:23], v[38:39]
	v_fma_f64 v[38:39], v[208:209], s[48:49], v[38:39]
	v_mul_f64 v[224:225], v[180:181], s[6:7]
	v_add_f64 v[42:43], v[232:233], v[42:43]
	v_mul_f64 v[46:47], v[210:211], s[48:49]
	v_add_f64 v[44:45], v[44:45], v[22:23]
	v_add_f64 v[34:35], v[34:35], v[26:27]
	;; [unrolled: 1-line block ×4, first 2 shown]
	v_fma_f64 v[32:33], v[184:185], s[26:27], -v[36:37]
	v_add_f64 v[28:29], v[102:103], v[28:29]
	v_fma_f64 v[226:227], v[184:185], s[26:27], v[36:37]
	v_fma_f64 v[36:37], v[154:155], s[44:45], v[224:225]
	v_add_f64 v[42:43], v[230:231], v[42:43]
	v_add_f64 v[30:31], v[38:39], v[34:35]
	v_mul_f64 v[34:35], v[206:207], s[26:27]
	v_fma_f64 v[228:229], v[196:197], s[4:5], v[46:47]
	v_add_f64 v[26:27], v[40:41], v[44:45]
	v_add_f64 v[28:29], v[32:33], v[28:29]
	v_mul_f64 v[32:33], v[168:169], s[28:29]
	v_fma_f64 v[38:39], v[196:197], s[4:5], -v[46:47]
	v_mul_f64 v[44:45], v[212:213], s[16:17]
	v_add_f64 v[36:37], v[50:51], v[36:37]
	v_fma_f64 v[46:47], v[164:165], s[38:39], v[34:35]
	v_mul_f64 v[230:231], v[166:167], s[30:31]
	v_fma_f64 v[224:225], v[154:155], s[28:29], v[224:225]
	v_add_f64 v[42:43], v[226:227], v[42:43]
	v_fma_f64 v[232:233], v[100:101], s[6:7], v[32:33]
	v_mul_f64 v[102:103], v[214:215], s[0:1]
	v_fma_f64 v[234:235], v[176:177], s[24:25], v[44:45]
	v_fma_f64 v[32:33], v[100:101], s[6:7], -v[32:33]
	v_add_f64 v[36:37], v[46:47], v[36:37]
	v_fma_f64 v[239:240], v[104:105], s[26:27], v[230:231]
	v_fma_f64 v[34:35], v[164:165], s[30:31], v[34:35]
	v_add_f64 v[224:225], v[50:51], v[224:225]
	v_add_f64 v[232:233], v[48:49], v[232:233]
	;; [unrolled: 1-line block ×3, first 2 shown]
	v_mul_f64 v[42:43], v[216:217], s[4:5]
	v_fma_f64 v[46:47], v[192:193], s[20:21], v[102:103]
	v_add_f64 v[36:37], v[234:235], v[36:37]
	v_fma_f64 v[230:231], v[104:105], s[26:27], -v[230:231]
	v_add_f64 v[32:33], v[48:49], v[32:33]
	v_mul_f64 v[234:235], v[194:195], s[40:41]
	v_add_f64 v[232:233], v[239:240], v[232:233]
	v_fma_f64 v[44:45], v[176:177], s[46:47], v[44:45]
	v_add_f64 v[34:35], v[34:35], v[224:225]
	v_mul_f64 v[40:41], v[218:219], s[18:19]
	v_fma_f64 v[228:229], v[202:203], s[48:49], v[42:43]
	v_add_f64 v[36:37], v[46:47], v[36:37]
	v_fma_f64 v[46:47], v[156:157], s[16:17], -v[237:238]
	v_add_f64 v[32:33], v[230:231], v[32:33]
	v_mul_f64 v[224:225], v[204:205], s[22:23]
	v_fma_f64 v[230:231], v[172:173], s[0:1], v[234:235]
	v_add_f64 v[232:233], v[241:242], v[232:233]
	v_fma_f64 v[102:103], v[192:193], s[40:41], v[102:103]
	v_add_f64 v[34:35], v[44:45], v[34:35]
	;; [unrolled: 2-line block ×3, first 2 shown]
	v_fma_f64 v[44:45], v[172:173], s[0:1], -v[234:235]
	v_add_f64 v[32:33], v[46:47], v[32:33]
	v_mul_f64 v[46:47], v[210:211], s[34:35]
	v_fma_f64 v[228:229], v[184:185], s[4:5], v[224:225]
	v_add_f64 v[230:231], v[230:231], v[232:233]
	v_fma_f64 v[42:43], v[202:203], s[22:23], v[42:43]
	v_add_f64 v[102:103], v[102:103], v[34:35]
	v_add_f64 v[28:29], v[38:39], v[28:29]
	v_fma_f64 v[38:39], v[184:185], s[4:5], -v[224:225]
	v_add_f64 v[32:33], v[44:45], v[32:33]
	v_add_f64 v[34:35], v[226:227], v[36:37]
	v_fma_f64 v[36:37], v[196:197], s[18:19], v[46:47]
	v_add_f64 v[44:45], v[228:229], v[230:231]
	v_fma_f64 v[40:41], v[208:209], s[34:35], v[40:41]
	v_add_f64 v[42:43], v[42:43], v[102:103]
	v_mul_f64 v[102:103], v[180:181], s[4:5]
	v_fma_f64 v[46:47], v[196:197], s[18:19], -v[46:47]
	v_add_f64 v[38:39], v[38:39], v[32:33]
	v_mul_f64 v[180:181], v[218:219], s[0:1]
	v_mul_f64 v[218:219], v[216:217], s[6:7]
	v_add_f64 v[32:33], v[36:37], v[44:45]
	v_mul_f64 v[36:37], v[206:207], s[16:17]
	v_add_f64 v[216:217], v[40:41], v[42:43]
	v_fma_f64 v[40:41], v[154:155], s[48:49], v[102:103]
	v_fma_f64 v[102:103], v[154:155], s[22:23], v[102:103]
	v_mul_f64 v[42:43], v[214:215], s[18:19]
	v_add_f64 v[214:215], v[46:47], v[38:39]
	v_mul_f64 v[46:47], v[212:213], s[26:27]
	v_add_f64 v[0:1], v[0:1], v[84:85]
	v_fma_f64 v[206:207], v[164:165], s[46:47], v[36:37]
	v_fma_f64 v[36:37], v[164:165], s[24:25], v[36:37]
	v_mul_f64 v[168:169], v[168:169], s[22:23]
	v_add_f64 v[102:103], v[50:51], v[102:103]
	v_add_f64 v[40:41], v[50:51], v[40:41]
	v_mul_f64 v[166:167], v[166:167], s[24:25]
	v_fma_f64 v[154:155], v[176:177], s[38:39], v[46:47]
	v_fma_f64 v[46:47], v[176:177], s[30:31], v[46:47]
	;; [unrolled: 1-line block ×5, first 2 shown]
	v_add_f64 v[36:37], v[36:37], v[102:103]
	v_add_f64 v[40:41], v[206:207], v[40:41]
	v_fma_f64 v[14:15], v[104:105], s[16:17], v[166:167]
	v_add_f64 v[6:7], v[10:11], v[6:7]
	v_fma_f64 v[10:11], v[156:157], s[26:27], v[12:13]
	v_fma_f64 v[42:43], v[192:193], s[42:43], v[42:43]
	v_add_f64 v[0:1], v[0:1], v[78:79]
	v_add_f64 v[164:165], v[48:49], v[224:225]
	;; [unrolled: 1-line block ×3, first 2 shown]
	buffer_load_dword v46, off, s[52:55], 0 offset:208 ; 4-byte Folded Reload
	buffer_load_dword v47, off, s[52:55], 0 offset:212 ; 4-byte Folded Reload
	;; [unrolled: 1-line block ×4, first 2 shown]
	v_add_f64 v[40:41], v[154:155], v[40:41]
	v_add_f64 v[2:3], v[6:7], v[2:3]
	v_mov_b32_e32 v225, v245
	v_fma_f64 v[12:13], v[156:157], s[26:27], -v[12:13]
	v_add_f64 v[0:1], v[0:1], v[76:77]
	v_add_f64 v[14:15], v[14:15], v[164:165]
	;; [unrolled: 1-line block ×3, first 2 shown]
	v_mul_f64 v[4:5], v[204:205], s[44:45]
	v_add_f64 v[40:41], v[212:213], v[40:41]
	v_add_f64 v[2:3], v[2:3], v[86:87]
	v_fma_f64 v[6:7], v[172:173], s[18:19], v[8:9]
	v_fma_f64 v[8:9], v[172:173], s[18:19], -v[8:9]
	v_add_f64 v[0:1], v[0:1], v[68:69]
	v_add_f64 v[10:11], v[10:11], v[14:15]
	v_mul_f64 v[42:43], v[210:211], s[40:41]
	v_fma_f64 v[38:39], v[208:209], s[20:21], v[180:181]
	v_add_f64 v[14:15], v[44:45], v[40:41]
	v_fma_f64 v[40:41], v[202:203], s[44:45], v[218:219]
	v_add_f64 v[2:3], v[2:3], v[80:81]
	v_fma_f64 v[80:81], v[104:105], s[16:17], -v[166:167]
	v_add_f64 v[0:1], v[0:1], v[96:97]
	v_fma_f64 v[44:45], v[184:185], s[6:7], v[4:5]
	v_fma_f64 v[4:5], v[184:185], s[6:7], -v[4:5]
	v_add_f64 v[6:7], v[6:7], v[10:11]
	v_fma_f64 v[10:11], v[208:209], s[40:41], v[180:181]
	v_add_f64 v[36:37], v[40:41], v[36:37]
	buffer_load_dword v40, off, s[52:55], 0 offset:200 ; 4-byte Folded Reload
	buffer_load_dword v41, off, s[52:55], 0 offset:204 ; 4-byte Folded Reload
	;; [unrolled: 1-line block ×4, first 2 shown]
	v_add_f64 v[2:3], v[2:3], v[72:73]
	v_add_f64 v[0:1], v[0:1], v[92:93]
	v_mov_b32_e32 v232, v159
	v_mov_b32_e32 v227, v107
	v_add_f64 v[44:45], v[44:45], v[6:7]
	v_mov_b32_e32 v226, v106
	v_mov_b32_e32 v231, v158
	;; [unrolled: 1-line block ×3, first 2 shown]
	v_add_f64 v[2:3], v[2:3], v[70:71]
	v_add_f64 v[0:1], v[0:1], v[74:75]
	v_mov_b32_e32 v229, v243
	v_mov_b32_e32 v228, v152
	;; [unrolled: 1-line block ×3, first 2 shown]
	v_add_f64 v[14:15], v[38:39], v[14:15]
	v_add_f64 v[2:3], v[2:3], v[98:99]
	;; [unrolled: 1-line block ×5, first 2 shown]
	v_lshrrev_b32_e32 v36, 2, v255
	v_mul_u32_u24_e32 v36, 52, v36
	v_and_b32_e32 v37, 3, v255
	v_or_b32_e32 v36, v36, v37
	v_lshl_add_u32 v36, v36, 4, v17
	v_add_f64 v[10:11], v[70:71], v[66:67]
	s_waitcnt vmcnt(4)
	v_add_f64 v[46:47], v[84:85], v[46:47]
	buffer_load_dword v84, off, s[52:55], 0 offset:280 ; 4-byte Folded Reload
	buffer_load_dword v85, off, s[52:55], 0 offset:284 ; 4-byte Folded Reload
	;; [unrolled: 1-line block ×5, first 2 shown]
	v_add_f64 v[46:47], v[50:51], v[46:47]
	s_waitcnt vmcnt(5)
	v_add_f64 v[40:41], v[40:41], -v[78:79]
	v_fma_f64 v[78:79], v[100:101], s[4:5], -v[168:169]
	v_add_f64 v[40:41], v[48:49], v[40:41]
	v_add_f64 v[48:49], v[48:49], v[78:79]
	;; [unrolled: 1-line block ×5, first 2 shown]
	v_fma_f64 v[12:13], v[196:197], s[0:1], -v[42:43]
	v_fma_f64 v[42:43], v[196:197], s[0:1], v[42:43]
	s_waitcnt vmcnt(1)
	v_add_f64 v[84:85], v[86:87], v[84:85]
	buffer_load_dword v50, off, s[52:55], 0 offset:272 ; 4-byte Folded Reload
	buffer_load_dword v51, off, s[52:55], 0 offset:276 ; 4-byte Folded Reload
	;; [unrolled: 1-line block ×8, first 2 shown]
	v_add_f64 v[46:47], v[84:85], v[46:47]
	s_waitcnt vmcnt(4)
	v_add_f64 v[50:51], v[50:51], -v[86:87]
	s_waitcnt vmcnt(2)
	v_add_f64 v[72:73], v[174:175], v[72:73]
	s_waitcnt vmcnt(0)
	v_add_f64 v[76:77], v[76:77], -v[170:171]
	v_add_f64 v[40:41], v[50:51], v[40:41]
	buffer_load_dword v50, off, s[52:55], 0 offset:256 ; 4-byte Folded Reload
	buffer_load_dword v51, off, s[52:55], 0 offset:260 ; 4-byte Folded Reload
	;; [unrolled: 1-line block ×6, first 2 shown]
	v_add_f64 v[46:47], v[72:73], v[46:47]
	v_add_f64 v[40:41], v[76:77], v[40:41]
	s_waitcnt vmcnt(4)
	v_add_f64 v[50:51], v[186:187], v[50:51]
	s_waitcnt vmcnt(2)
	v_add_f64 v[68:69], v[68:69], -v[182:183]
	s_waitcnt vmcnt(0)
	v_add_f64 v[48:49], v[200:201], v[48:49]
	v_add_f64 v[46:47], v[50:51], v[46:47]
	buffer_load_dword v50, off, s[52:55], 0 offset:224 ; 4-byte Folded Reload
	buffer_load_dword v51, off, s[52:55], 0 offset:228 ; 4-byte Folded Reload
	v_add_f64 v[40:41], v[68:69], v[40:41]
	v_add_f64 v[68:69], v[222:223], v[247:248]
	v_mov_b32_e32 v247, v246
	v_mov_b32_e32 v246, v252
	buffer_load_dword v252, off, s[52:55], 0 offset:192 ; 4-byte Folded Reload
	v_mov_b32_e32 v248, v249
	v_add_f64 v[46:47], v[48:49], v[46:47]
	buffer_load_dword v48, off, s[52:55], 0 offset:216 ; 4-byte Folded Reload
	buffer_load_dword v49, off, s[52:55], 0 offset:220 ; 4-byte Folded Reload
	v_add_f64 v[6:7], v[68:69], v[46:47]
	s_waitcnt vmcnt(3)
	v_add_f64 v[50:51], v[50:51], -v[198:199]
	s_waitcnt vmcnt(0)
	v_add_f64 v[48:49], v[48:49], -v[220:221]
	v_add_f64 v[40:41], v[50:51], v[40:41]
	v_add_f64 v[50:51], v[4:5], v[8:9]
	v_add_f64 v[8:9], v[0:1], v[64:65]
	v_add_f64 v[4:5], v[48:49], v[40:41]
	v_add_f64 v[0:1], v[12:13], v[50:51]
	v_add_f64 v[12:13], v[42:43], v[44:45]
	ds_write_b128 v36, v[8:11]
	ds_write_b128 v36, v[4:7] offset:64
	ds_write_b128 v36, v[0:3] offset:128
	;; [unrolled: 1-line block ×12, first 2 shown]
.LBB0_5:
	s_or_b64 exec, exec, s[36:37]
	v_lshlrev_b32_e32 v0, 4, v255
	v_add_co_u32_e64 v2, s[0:1], s12, v0
	v_mov_b32_e32 v0, s13
	v_addc_co_u32_e64 v3, s[0:1], 0, v0, s[0:1]
	s_movk_i32 s0, 0xffcc
	v_add_co_u32_e64 v0, s[0:1], s0, v255
	v_addc_co_u32_e64 v1, s[0:1], 0, -1, s[0:1]
	v_cmp_gt_u16_e64 s[0:1], 52, v255
	v_cndmask_b32_e64 v1, v1, 0, s[0:1]
	v_cndmask_b32_e64 v0, v0, v255, s[0:1]
	v_lshlrev_b64 v[13:14], 4, v[0:1]
	v_mov_b32_e32 v4, s15
	v_add_co_u32_e64 v13, s[0:1], s14, v13
	v_addc_co_u32_e64 v14, s[0:1], v4, v14, s[0:1]
	s_waitcnt lgkmcnt(0)
	s_barrier
	ds_read_b128 v[9:12], v16
	ds_read_b128 v[5:8], v16 offset:7488
	ds_read_b128 v[20:23], v16 offset:1248
	;; [unrolled: 1-line block ×11, first 2 shown]
	global_load_dwordx4 v[48:51], v[13:14], off offset:800
	s_movk_i32 s0, 0x4f
	v_mul_lo_u16_sdwa v1, v19, s0 dst_sel:DWORD dst_unused:UNUSED_PAD src0_sel:BYTE_0 src1_sel:DWORD
	v_lshrrev_b16_e32 v1, 12, v1
	v_mov_b32_e32 v40, 4
	s_movk_i32 s4, 0x68
	s_mov_b32 s7, 0xbfebb67a
	s_movk_i32 s12, 0x1360
	s_movk_i32 s13, 0x1000
	s_waitcnt vmcnt(0) lgkmcnt(10)
	v_mul_f64 v[13:14], v[7:8], v[50:51]
	v_fma_f64 v[13:14], v[5:6], v[48:49], -v[13:14]
	v_mul_f64 v[5:6], v[5:6], v[50:51]
	v_fma_f64 v[5:6], v[7:8], v[48:49], v[5:6]
	v_mul_lo_u16_e32 v7, 52, v1
	v_sub_u16_e32 v15, v19, v7
	v_lshlrev_b32_sdwa v7, v40, v15 dst_sel:DWORD dst_unused:UNUSED_PAD src0_sel:DWORD src1_sel:BYTE_0
	global_load_dwordx4 v[52:55], v7, s[14:15] offset:800
	s_waitcnt vmcnt(0) lgkmcnt(8)
	v_mul_f64 v[7:8], v[26:27], v[54:55]
	v_fma_f64 v[36:37], v[24:25], v[52:53], -v[7:8]
	v_mul_f64 v[7:8], v[24:25], v[54:55]
	v_fma_f64 v[38:39], v[26:27], v[52:53], v[7:8]
	v_mul_lo_u16_sdwa v8, v253, s0 dst_sel:DWORD dst_unused:UNUSED_PAD src0_sel:BYTE_0 src1_sel:DWORD
	v_lshrrev_b16_e32 v104, 12, v8
	v_mul_lo_u16_e32 v7, 52, v104
	v_sub_u16_e32 v105, v253, v7
	v_lshlrev_b32_sdwa v7, v40, v105 dst_sel:DWORD dst_unused:UNUSED_PAD src0_sel:DWORD src1_sel:BYTE_0
	global_load_dwordx4 v[56:59], v7, s[14:15] offset:800
	s_movk_i32 s0, 0x4ec5
	v_mul_u32_u24_sdwa v7, v18, s0 dst_sel:DWORD dst_unused:UNUSED_PAD src0_sel:WORD_0 src1_sel:DWORD
	v_lshrrev_b32_e32 v106, 20, v7
	v_add_f64 v[26:27], v[11:12], -v[5:6]
	v_mov_b32_e32 v5, 0x68
	v_lshrrev_b32_e32 v7, 21, v7
	v_mul_lo_u16_e32 v7, 0x68, v7
	v_fma_f64 v[11:12], v[11:12], 2.0, -v[26:27]
	s_waitcnt vmcnt(0) lgkmcnt(6)
	v_mul_f64 v[24:25], v[34:35], v[58:59]
	v_fma_f64 v[40:41], v[32:33], v[56:57], -v[24:25]
	v_mul_f64 v[24:25], v[32:33], v[58:59]
	v_add_f64 v[32:33], v[20:21], -v[36:37]
	v_fma_f64 v[42:43], v[34:35], v[56:57], v[24:25]
	v_mul_lo_u16_e32 v24, 52, v106
	v_sub_u16_e32 v107, v18, v24
	v_lshlrev_b32_e32 v24, 4, v107
	global_load_dwordx4 v[60:63], v24, s[14:15] offset:800
	v_add_f64 v[34:35], v[22:23], -v[38:39]
	v_fma_f64 v[20:21], v[20:21], 2.0, -v[32:33]
	v_fma_f64 v[22:23], v[22:23], 2.0, -v[34:35]
	s_waitcnt vmcnt(0) lgkmcnt(4)
	v_mul_f64 v[24:25], v[66:67], v[62:63]
	v_fma_f64 v[44:45], v[64:65], v[60:61], -v[24:25]
	v_mul_f64 v[24:25], v[64:65], v[62:63]
	v_add_f64 v[92:93], v[72:73], -v[44:45]
	v_fma_f64 v[46:47], v[66:67], v[60:61], v[24:25]
	v_mul_u32_u24_sdwa v24, v251, s0 dst_sel:DWORD dst_unused:UNUSED_PAD src0_sel:WORD_0 src1_sel:DWORD
	v_lshrrev_b32_e32 v152, 20, v24
	v_mul_lo_u16_e32 v24, 52, v152
	v_sub_u16_e32 v153, v251, v24
	v_lshlrev_b32_e32 v24, 4, v153
	global_load_dwordx4 v[64:67], v24, s[14:15] offset:800
	v_fma_f64 v[72:73], v[72:73], 2.0, -v[92:93]
	v_add_f64 v[94:95], v[74:75], -v[46:47]
	v_lshl_add_u32 v251, v255, 4, v17
	v_fma_f64 v[74:75], v[74:75], 2.0, -v[94:95]
	s_waitcnt vmcnt(0) lgkmcnt(2)
	v_mul_f64 v[24:25], v[70:71], v[66:67]
	v_fma_f64 v[96:97], v[68:69], v[64:65], -v[24:25]
	v_mul_f64 v[24:25], v[68:69], v[66:67]
	v_add_f64 v[96:97], v[76:77], -v[96:97]
	v_fma_f64 v[98:99], v[70:71], v[64:65], v[24:25]
	v_mul_u32_u24_sdwa v24, v250, s0 dst_sel:DWORD dst_unused:UNUSED_PAD src0_sel:WORD_0 src1_sel:DWORD
	v_lshrrev_b32_e32 v154, 20, v24
	v_mul_lo_u16_e32 v24, 52, v154
	v_sub_u16_e32 v155, v250, v24
	v_lshlrev_b32_e32 v24, 4, v155
	global_load_dwordx4 v[68:71], v24, s[14:15] offset:800
	v_cmp_lt_u16_e64 s[0:1], 51, v255
	v_add_f64 v[98:99], v[78:79], -v[98:99]
	v_cndmask_b32_e64 v5, 0, v5, s[0:1]
	v_add_u32_e32 v0, v0, v5
	v_fma_f64 v[76:77], v[76:77], 2.0, -v[96:97]
	v_lshl_add_u32 v237, v0, 4, v17
	v_mul_u32_u24_e32 v0, 0x68, v1
	v_add_u32_sdwa v0, v0, v15 dst_sel:DWORD dst_unused:UNUSED_PAD src0_sel:DWORD src1_sel:BYTE_0
	v_lshl_add_u32 v238, v0, 4, v17
	v_fma_f64 v[78:79], v[78:79], 2.0, -v[98:99]
	v_mul_u32_u24_e32 v0, 0x68, v104
	v_add_u32_sdwa v0, v0, v105 dst_sel:DWORD dst_unused:UNUSED_PAD src0_sel:DWORD src1_sel:BYTE_0
	v_lshl_add_u32 v239, v0, 4, v17
	v_mad_legacy_u16 v0, v106, s4, v107
	v_lshl_add_u32 v240, v0, 4, v17
	v_mad_legacy_u16 v0, v152, s4, v153
	v_lshl_add_u32 v241, v0, 4, v17
	v_mad_legacy_u16 v0, v154, s4, v155
	v_lshl_add_u32 v242, v0, 4, v17
	v_lshlrev_b32_e32 v0, 4, v232
	s_waitcnt vmcnt(0) lgkmcnt(0)
	s_barrier
	v_add_co_u32_e64 v5, s[0:1], s14, v0
	v_addc_co_u32_e64 v6, s[0:1], 0, v4, s[0:1]
	s_movk_i32 s0, 0xffe6
	s_mov_b32 s4, 0xe8584caa
	s_mov_b32 s5, 0x3febb67a
	;; [unrolled: 1-line block ×3, first 2 shown]
	v_mul_f64 v[24:25], v[86:87], v[70:71]
	v_fma_f64 v[100:101], v[84:85], v[68:69], -v[24:25]
	v_mul_f64 v[24:25], v[84:85], v[70:71]
	v_add_f64 v[84:85], v[28:29], -v[40:41]
	v_add_f64 v[100:101], v[80:81], -v[100:101]
	v_fma_f64 v[102:103], v[86:87], v[68:69], v[24:25]
	v_add_f64 v[24:25], v[9:10], -v[13:14]
	v_add_f64 v[86:87], v[30:31], -v[42:43]
	v_fma_f64 v[28:29], v[28:29], 2.0, -v[84:85]
	v_fma_f64 v[80:81], v[80:81], 2.0, -v[100:101]
	v_add_f64 v[102:103], v[82:83], -v[102:103]
	v_fma_f64 v[9:10], v[9:10], 2.0, -v[24:25]
	v_fma_f64 v[30:31], v[30:31], 2.0, -v[86:87]
	ds_write_b128 v237, v[9:12]
	ds_write_b128 v237, v[24:27] offset:832
	v_fma_f64 v[82:83], v[82:83], 2.0, -v[102:103]
	ds_write_b128 v238, v[20:23]
	ds_write_b128 v238, v[32:35] offset:832
	ds_write_b128 v239, v[28:31]
	ds_write_b128 v239, v[84:87] offset:832
	;; [unrolled: 2-line block ×5, first 2 shown]
	s_waitcnt lgkmcnt(0)
	s_barrier
	ds_read_b128 v[9:12], v16
	ds_read_b128 v[20:23], v16 offset:4992
	ds_read_b128 v[24:27], v16 offset:9984
	ds_read_b128 v[164:167], v16 offset:1248
	ds_read_b128 v[28:31], v16 offset:6240
	ds_read_b128 v[32:35], v16 offset:11232
	ds_read_b128 v[156:159], v16 offset:2496
	ds_read_b128 v[100:103], v16 offset:7488
	ds_read_b128 v[104:107], v16 offset:12480
	ds_read_b128 v[152:155], v16 offset:3744
	ds_read_b128 v[168:171], v16 offset:8736
	ds_read_b128 v[172:175], v16 offset:13728
	global_load_dwordx4 v[72:75], v0, s[14:15] offset:1648
	global_load_dwordx4 v[76:79], v0, s[14:15] offset:1632
	s_waitcnt vmcnt(0) lgkmcnt(10)
	v_mul_f64 v[0:1], v[22:23], v[78:79]
	v_fma_f64 v[13:14], v[20:21], v[76:77], -v[0:1]
	v_mul_f64 v[0:1], v[20:21], v[78:79]
	v_fma_f64 v[21:22], v[22:23], v[76:77], v[0:1]
	s_waitcnt lgkmcnt(9)
	v_mul_f64 v[0:1], v[26:27], v[74:75]
	v_fma_f64 v[36:37], v[24:25], v[72:73], -v[0:1]
	v_mul_f64 v[0:1], v[24:25], v[74:75]
	v_fma_f64 v[25:26], v[26:27], v[72:73], v[0:1]
	v_add_co_u32_e64 v0, s[0:1], s0, v255
	v_addc_co_u32_e64 v1, s[0:1], 0, -1, s[0:1]
	v_cmp_gt_u16_e64 s[0:1], 26, v255
	v_cndmask_b32_e64 v1, v1, v231, s[0:1]
	v_cndmask_b32_e64 v0, v0, v19, s[0:1]
	v_lshlrev_b64 v[19:20], 5, v[0:1]
	v_lshrrev_b16_e32 v1, 13, v8
	v_add_co_u32_e64 v19, s[0:1], s14, v19
	v_addc_co_u32_e64 v20, s[0:1], v4, v20, s[0:1]
	global_load_dwordx4 v[80:83], v[19:20], off offset:1648
	global_load_dwordx4 v[84:87], v[19:20], off offset:1632
	v_mul_lo_u16_e32 v8, 0x68, v1
	v_sub_u16_e32 v15, v253, v8
	v_mov_b32_e32 v8, 5
	v_lshlrev_b32_sdwa v8, v8, v15 dst_sel:DWORD dst_unused:UNUSED_PAD src0_sel:DWORD src1_sel:BYTE_0
	global_load_dwordx4 v[92:95], v8, s[14:15] offset:1648
	global_load_dwordx4 v[96:99], v8, s[14:15] offset:1632
	v_add_f64 v[23:24], v[21:22], -v[25:26]
	s_waitcnt vmcnt(2) lgkmcnt(7)
	v_mul_f64 v[19:20], v[30:31], v[86:87]
	v_fma_f64 v[38:39], v[28:29], v[84:85], -v[19:20]
	v_mul_f64 v[19:20], v[28:29], v[86:87]
	v_fma_f64 v[40:41], v[30:31], v[84:85], v[19:20]
	s_waitcnt lgkmcnt(6)
	v_mul_f64 v[19:20], v[34:35], v[82:83]
	v_fma_f64 v[42:43], v[32:33], v[80:81], -v[19:20]
	v_mul_f64 v[19:20], v[32:33], v[82:83]
	v_fma_f64 v[33:34], v[34:35], v[80:81], v[19:20]
	s_waitcnt vmcnt(0) lgkmcnt(4)
	v_mul_f64 v[19:20], v[102:103], v[98:99]
	v_sub_u16_e32 v35, v18, v7
	v_lshlrev_b16_e32 v7, 5, v35
	v_add_co_u32_e64 v7, s[0:1], s14, v7
	v_addc_co_u32_e64 v8, s[0:1], 0, v4, s[0:1]
	v_cmp_lt_u16_e64 s[0:1], 25, v255
	v_fma_f64 v[44:45], v[100:101], v[96:97], -v[19:20]
	v_mul_f64 v[19:20], v[100:101], v[98:99]
	v_lshl_add_u32 v250, v35, 4, v17
	v_fma_f64 v[46:47], v[102:103], v[96:97], v[19:20]
	s_waitcnt lgkmcnt(3)
	v_mul_f64 v[19:20], v[106:107], v[94:95]
	v_fma_f64 v[176:177], v[104:105], v[92:93], -v[19:20]
	v_mul_f64 v[19:20], v[104:105], v[94:95]
	v_fma_f64 v[178:179], v[106:107], v[92:93], v[19:20]
	global_load_dwordx4 v[100:103], v[7:8], off offset:1648
	global_load_dwordx4 v[104:107], v[7:8], off offset:1632
	v_add_f64 v[19:20], v[13:14], v[36:37]
	s_waitcnt vmcnt(0) lgkmcnt(0)
	s_barrier
	v_mul_f64 v[7:8], v[170:171], v[106:107]
	v_fma_f64 v[182:183], v[168:169], v[104:105], -v[7:8]
	v_mul_f64 v[7:8], v[168:169], v[106:107]
	v_fma_f64 v[184:185], v[170:171], v[104:105], v[7:8]
	v_mul_f64 v[7:8], v[174:175], v[102:103]
	v_fma_f64 v[186:187], v[172:173], v[100:101], -v[7:8]
	v_mul_f64 v[7:8], v[172:173], v[102:103]
	v_fma_f64 v[192:193], v[174:175], v[100:101], v[7:8]
	v_add_f64 v[7:8], v[9:10], v[13:14]
	v_fma_f64 v[9:10], v[19:20], -0.5, v[9:10]
	v_add_f64 v[13:14], v[13:14], -v[36:37]
	v_add_f64 v[7:8], v[7:8], v[36:37]
	v_fma_f64 v[19:20], v[23:24], s[4:5], v[9:10]
	v_fma_f64 v[23:24], v[23:24], s[6:7], v[9:10]
	v_add_f64 v[9:10], v[11:12], v[21:22]
	v_add_f64 v[21:22], v[21:22], v[25:26]
	;; [unrolled: 1-line block ×3, first 2 shown]
	v_fma_f64 v[11:12], v[21:22], -0.5, v[11:12]
	v_fma_f64 v[21:22], v[13:14], s[6:7], v[11:12]
	v_fma_f64 v[25:26], v[13:14], s[4:5], v[11:12]
	v_add_f64 v[11:12], v[164:165], v[38:39]
	v_add_f64 v[13:14], v[40:41], -v[33:34]
	ds_write_b128 v16, v[7:10]
	ds_write_b128 v16, v[19:22] offset:1664
	ds_write_b128 v16, v[23:26] offset:3328
	v_mov_b32_e32 v7, 0x138
	v_cndmask_b32_e64 v7, 0, v7, s[0:1]
	v_add_f64 v[27:28], v[11:12], v[42:43]
	v_add_f64 v[11:12], v[38:39], v[42:43]
	v_add_u32_e32 v0, v0, v7
	v_lshl_add_u32 v243, v0, 4, v17
	v_mul_u32_u24_e32 v0, 0x138, v1
	v_add_u32_sdwa v0, v0, v15 dst_sel:DWORD dst_unused:UNUSED_PAD src0_sel:DWORD src1_sel:BYTE_0
	v_lshl_add_u32 v244, v0, 4, v17
	v_add_co_u32_e64 v0, s[0:1], s12, v5
	v_fma_f64 v[11:12], v[11:12], -0.5, v[164:165]
	v_addc_co_u32_e64 v1, s[0:1], 0, v6, s[0:1]
	v_add_co_u32_e64 v5, s[0:1], s13, v5
	v_addc_co_u32_e64 v6, s[0:1], 0, v6, s[0:1]
	v_fma_f64 v[31:32], v[13:14], s[4:5], v[11:12]
	v_fma_f64 v[164:165], v[13:14], s[6:7], v[11:12]
	v_add_f64 v[11:12], v[166:167], v[40:41]
	v_add_f64 v[13:14], v[38:39], -v[42:43]
	v_add_f64 v[29:30], v[11:12], v[33:34]
	v_add_f64 v[11:12], v[40:41], v[33:34]
	v_fma_f64 v[11:12], v[11:12], -0.5, v[166:167]
	v_fma_f64 v[33:34], v[13:14], s[6:7], v[11:12]
	v_fma_f64 v[166:167], v[13:14], s[4:5], v[11:12]
	v_add_f64 v[11:12], v[156:157], v[44:45]
	v_add_f64 v[13:14], v[46:47], -v[178:179]
	ds_write_b128 v243, v[27:30]
	ds_write_b128 v243, v[31:34] offset:1664
	ds_write_b128 v243, v[164:167] offset:3328
	v_add_f64 v[168:169], v[11:12], v[176:177]
	v_add_f64 v[11:12], v[44:45], v[176:177]
	v_fma_f64 v[11:12], v[11:12], -0.5, v[156:157]
	v_fma_f64 v[156:157], v[13:14], s[4:5], v[11:12]
	v_fma_f64 v[172:173], v[13:14], s[6:7], v[11:12]
	v_add_f64 v[11:12], v[158:159], v[46:47]
	v_add_f64 v[13:14], v[44:45], -v[176:177]
	v_add_f64 v[170:171], v[11:12], v[178:179]
	v_add_f64 v[11:12], v[46:47], v[178:179]
	v_fma_f64 v[11:12], v[11:12], -0.5, v[158:159]
	v_fma_f64 v[158:159], v[13:14], s[6:7], v[11:12]
	v_fma_f64 v[174:175], v[13:14], s[4:5], v[11:12]
	v_add_f64 v[11:12], v[152:153], v[182:183]
	v_add_f64 v[13:14], v[184:185], -v[192:193]
	ds_write_b128 v244, v[168:171]
	ds_write_b128 v244, v[156:159] offset:1664
	ds_write_b128 v244, v[172:175] offset:3328
	v_add_f64 v[176:177], v[11:12], v[186:187]
	v_add_f64 v[11:12], v[182:183], v[186:187]
	v_fma_f64 v[11:12], v[11:12], -0.5, v[152:153]
	v_fma_f64 v[152:153], v[13:14], s[4:5], v[11:12]
	v_fma_f64 v[180:181], v[13:14], s[6:7], v[11:12]
	v_add_f64 v[11:12], v[154:155], v[184:185]
	v_add_f64 v[13:14], v[182:183], -v[186:187]
	v_add_f64 v[178:179], v[11:12], v[192:193]
	v_add_f64 v[11:12], v[184:185], v[192:193]
	v_fma_f64 v[11:12], v[11:12], -0.5, v[154:155]
	v_fma_f64 v[154:155], v[13:14], s[6:7], v[11:12]
	v_fma_f64 v[182:183], v[13:14], s[4:5], v[11:12]
	ds_write_b128 v250, v[176:179] offset:9984
	ds_write_b128 v250, v[152:155] offset:11648
	;; [unrolled: 1-line block ×3, first 2 shown]
	s_waitcnt lgkmcnt(0)
	s_barrier
	ds_read_b128 v[7:10], v16
	ds_read_b128 v[20:23], v16 offset:4992
	ds_read_b128 v[24:27], v16 offset:9984
	;; [unrolled: 1-line block ×11, first 2 shown]
	global_load_dwordx4 v[156:159], v[5:6], off offset:864
	global_load_dwordx4 v[152:155], v[0:1], off offset:16
	s_waitcnt vmcnt(1) lgkmcnt(10)
	v_mul_f64 v[5:6], v[20:21], v[158:159]
	v_mul_f64 v[0:1], v[22:23], v[158:159]
	v_fma_f64 v[11:12], v[22:23], v[156:157], v[5:6]
	s_waitcnt vmcnt(0) lgkmcnt(9)
	v_mul_f64 v[5:6], v[26:27], v[154:155]
	v_fma_f64 v[0:1], v[20:21], v[156:157], -v[0:1]
	v_fma_f64 v[22:23], v[24:25], v[152:153], -v[5:6]
	v_mul_f64 v[5:6], v[24:25], v[154:155]
	v_fma_f64 v[26:27], v[26:27], v[152:153], v[5:6]
	v_lshlrev_b32_e32 v5, 4, v230
	v_add_co_u32_e64 v13, s[0:1], s14, v5
	v_addc_co_u32_e64 v14, s[0:1], 0, v4, s[0:1]
	v_add_co_u32_e64 v5, s[0:1], s12, v13
	v_addc_co_u32_e64 v6, s[0:1], 0, v14, s[0:1]
	;; [unrolled: 2-line block ×3, first 2 shown]
	global_load_dwordx4 v[168:171], v[20:21], off offset:864
	global_load_dwordx4 v[164:167], v[5:6], off offset:16
	v_add_f64 v[24:25], v[11:12], -v[26:27]
	s_waitcnt vmcnt(1) lgkmcnt(7)
	v_mul_f64 v[5:6], v[30:31], v[170:171]
	v_fma_f64 v[36:37], v[28:29], v[168:169], -v[5:6]
	v_mul_f64 v[5:6], v[28:29], v[170:171]
	v_fma_f64 v[30:31], v[30:31], v[168:169], v[5:6]
	s_waitcnt vmcnt(0) lgkmcnt(6)
	v_mul_f64 v[5:6], v[34:35], v[166:167]
	v_fma_f64 v[38:39], v[32:33], v[164:165], -v[5:6]
	v_mul_f64 v[5:6], v[32:33], v[166:167]
	v_fma_f64 v[34:35], v[34:35], v[164:165], v[5:6]
	v_lshlrev_b32_e32 v5, 5, v253
	v_add_co_u32_e64 v13, s[0:1], s14, v5
	v_addc_co_u32_e64 v14, s[0:1], 0, v4, s[0:1]
	v_add_co_u32_e64 v5, s[0:1], s12, v13
	v_addc_co_u32_e64 v6, s[0:1], 0, v14, s[0:1]
	;; [unrolled: 2-line block ×3, first 2 shown]
	global_load_dwordx4 v[176:179], v[20:21], off offset:864
	global_load_dwordx4 v[172:175], v[5:6], off offset:16
	s_waitcnt vmcnt(1) lgkmcnt(4)
	v_mul_f64 v[5:6], v[182:183], v[178:179]
	v_fma_f64 v[40:41], v[180:181], v[176:177], -v[5:6]
	v_mul_f64 v[5:6], v[180:181], v[178:179]
	v_fma_f64 v[42:43], v[182:183], v[176:177], v[5:6]
	s_waitcnt vmcnt(0) lgkmcnt(3)
	v_mul_f64 v[5:6], v[186:187], v[174:175]
	v_fma_f64 v[44:45], v[184:185], v[172:173], -v[5:6]
	v_mul_f64 v[5:6], v[184:185], v[174:175]
	v_fma_f64 v[46:47], v[186:187], v[172:173], v[5:6]
	v_lshlrev_b32_e32 v5, 5, v18
	v_add_co_u32_e64 v6, s[0:1], s14, v5
	v_addc_co_u32_e64 v13, s[0:1], 0, v4, s[0:1]
	v_add_co_u32_e64 v4, s[0:1], s12, v6
	v_addc_co_u32_e64 v5, s[0:1], 0, v13, s[0:1]
	;; [unrolled: 2-line block ×3, first 2 shown]
	global_load_dwordx4 v[184:187], v[20:21], off offset:864
	global_load_dwordx4 v[180:183], v[4:5], off offset:16
	v_add_f64 v[20:21], v[0:1], v[22:23]
	s_movk_i32 s0, 0x3a80
	s_waitcnt vmcnt(1) lgkmcnt(1)
	v_mul_f64 v[4:5], v[206:207], v[186:187]
	v_fma_f64 v[214:215], v[204:205], v[184:185], -v[4:5]
	v_mul_f64 v[4:5], v[204:205], v[186:187]
	v_fma_f64 v[216:217], v[206:207], v[184:185], v[4:5]
	s_waitcnt vmcnt(0) lgkmcnt(0)
	v_mul_f64 v[4:5], v[210:211], v[182:183]
	v_fma_f64 v[218:219], v[208:209], v[180:181], -v[4:5]
	v_mul_f64 v[4:5], v[208:209], v[182:183]
	v_fma_f64 v[220:221], v[210:211], v[180:181], v[4:5]
	v_add_f64 v[4:5], v[7:8], v[0:1]
	v_fma_f64 v[6:7], v[20:21], -0.5, v[7:8]
	v_add_f64 v[0:1], v[0:1], -v[22:23]
	v_add_f64 v[4:5], v[4:5], v[22:23]
	v_fma_f64 v[20:21], v[24:25], s[4:5], v[6:7]
	v_fma_f64 v[24:25], v[24:25], s[6:7], v[6:7]
	v_add_f64 v[6:7], v[9:10], v[11:12]
	v_add_f64 v[11:12], v[11:12], v[26:27]
	;; [unrolled: 1-line block ×3, first 2 shown]
	v_fma_f64 v[8:9], v[11:12], -0.5, v[9:10]
	v_add_f64 v[10:11], v[30:31], -v[34:35]
	v_add_f64 v[12:13], v[36:37], -v[38:39]
	v_fma_f64 v[22:23], v[0:1], s[6:7], v[8:9]
	v_fma_f64 v[26:27], v[0:1], s[4:5], v[8:9]
	v_add_f64 v[0:1], v[200:201], v[36:37]
	ds_write_b128 v16, v[4:7]
	ds_write_b128 v16, v[20:23] offset:4992
	v_add_f64 v[8:9], v[0:1], v[38:39]
	v_add_f64 v[0:1], v[36:37], v[38:39]
	v_fma_f64 v[0:1], v[0:1], -0.5, v[200:201]
	v_fma_f64 v[28:29], v[10:11], s[4:5], v[0:1]
	v_fma_f64 v[32:33], v[10:11], s[6:7], v[0:1]
	v_add_f64 v[0:1], v[202:203], v[30:31]
	v_add_f64 v[10:11], v[0:1], v[34:35]
	v_add_f64 v[0:1], v[30:31], v[34:35]
	v_fma_f64 v[0:1], v[0:1], -0.5, v[202:203]
	v_fma_f64 v[30:31], v[12:13], s[6:7], v[0:1]
	v_fma_f64 v[34:35], v[12:13], s[4:5], v[0:1]
	v_add_f64 v[0:1], v[196:197], v[40:41]
	v_add_f64 v[12:13], v[42:43], -v[46:47]
	v_add_f64 v[200:201], v[0:1], v[44:45]
	v_add_f64 v[0:1], v[40:41], v[44:45]
	v_fma_f64 v[0:1], v[0:1], -0.5, v[196:197]
	v_fma_f64 v[196:197], v[12:13], s[4:5], v[0:1]
	v_fma_f64 v[204:205], v[12:13], s[6:7], v[0:1]
	v_add_f64 v[0:1], v[198:199], v[42:43]
	v_add_f64 v[12:13], v[40:41], -v[44:45]
	v_add_f64 v[202:203], v[0:1], v[46:47]
	v_add_f64 v[0:1], v[42:43], v[46:47]
	;; [unrolled: 7-line block ×4, first 2 shown]
	v_fma_f64 v[0:1], v[0:1], -0.5, v[194:195]
	v_fma_f64 v[194:195], v[12:13], s[6:7], v[0:1]
	v_fma_f64 v[214:215], v[12:13], s[4:5], v[0:1]
	v_add_co_u32_e64 v0, s[0:1], s0, v2
	v_addc_co_u32_e64 v1, s[0:1], 0, v3, s[0:1]
	s_movk_i32 s0, 0x3000
	ds_write_b128 v251, v[24:27] offset:9984
	ds_write_b128 v16, v[8:11] offset:1248
	;; [unrolled: 1-line block ×10, first 2 shown]
	v_add_co_u32_e64 v8, s[0:1], s0, v2
	v_addc_co_u32_e64 v9, s[0:1], 0, v3, s[0:1]
	s_waitcnt lgkmcnt(0)
	s_barrier
	global_load_dwordx4 v[8:11], v[8:9], off offset:2688
	ds_read_b128 v[4:7], v16
	s_movk_i32 s0, 0x5000
	s_waitcnt vmcnt(0) lgkmcnt(0)
	v_mul_f64 v[12:13], v[6:7], v[10:11]
	v_fma_f64 v[20:21], v[4:5], v[8:9], -v[12:13]
	v_mul_f64 v[4:5], v[4:5], v[10:11]
	v_add_co_u32_e64 v12, s[0:1], s0, v2
	v_addc_co_u32_e64 v13, s[0:1], 0, v3, s[0:1]
	s_movk_i32 s0, 0x6000
	v_add_co_u32_e64 v24, s[0:1], s0, v2
	v_fma_f64 v[22:23], v[6:7], v[8:9], v[4:5]
	global_load_dwordx4 v[8:11], v[12:13], off offset:1984
	ds_read_b128 v[4:7], v16 offset:7488
	v_addc_co_u32_e64 v25, s[0:1], 0, v3, s[0:1]
	s_movk_i32 s0, 0x4000
	ds_write_b128 v16, v[20:23]
	s_waitcnt vmcnt(0) lgkmcnt(1)
	v_mul_f64 v[20:21], v[6:7], v[10:11]
	v_fma_f64 v[20:21], v[4:5], v[8:9], -v[20:21]
	v_mul_f64 v[4:5], v[4:5], v[10:11]
	v_fma_f64 v[22:23], v[6:7], v[8:9], v[4:5]
	global_load_dwordx4 v[8:11], v[0:1], off offset:1248
	ds_read_b128 v[4:7], v16 offset:1248
	ds_write_b128 v16, v[20:23] offset:7488
	s_waitcnt vmcnt(0) lgkmcnt(1)
	v_mul_f64 v[20:21], v[6:7], v[10:11]
	v_fma_f64 v[20:21], v[4:5], v[8:9], -v[20:21]
	v_mul_f64 v[4:5], v[4:5], v[10:11]
	v_fma_f64 v[22:23], v[6:7], v[8:9], v[4:5]
	global_load_dwordx4 v[8:11], v[12:13], off offset:3232
	ds_read_b128 v[4:7], v16 offset:8736
	ds_write_b128 v16, v[20:23] offset:1248
	;; [unrolled: 8-line block ×6, first 2 shown]
	s_waitcnt vmcnt(0) lgkmcnt(1)
	v_mul_f64 v[0:1], v[6:7], v[10:11]
	v_fma_f64 v[20:21], v[4:5], v[8:9], -v[0:1]
	v_mul_f64 v[0:1], v[4:5], v[10:11]
	v_fma_f64 v[22:23], v[6:7], v[8:9], v[0:1]
	v_add_co_u32_e64 v0, s[0:1], s0, v2
	v_addc_co_u32_e64 v1, s[0:1], 0, v3, s[0:1]
	global_load_dwordx4 v[8:11], v[0:1], off offset:3584
	ds_read_b128 v[4:7], v16 offset:4992
	s_movk_i32 s0, 0x7000
	ds_write_b128 v16, v[20:23] offset:11232
	s_waitcnt vmcnt(0) lgkmcnt(1)
	v_mul_f64 v[0:1], v[6:7], v[10:11]
	v_fma_f64 v[20:21], v[4:5], v[8:9], -v[0:1]
	v_mul_f64 v[0:1], v[4:5], v[10:11]
	v_fma_f64 v[22:23], v[6:7], v[8:9], v[0:1]
	global_load_dwordx4 v[8:11], v[24:25], off offset:2880
	ds_read_b128 v[4:7], v16 offset:12480
	ds_write_b128 v16, v[20:23] offset:4992
	s_waitcnt vmcnt(0) lgkmcnt(1)
	v_mul_f64 v[0:1], v[6:7], v[10:11]
	v_fma_f64 v[20:21], v[4:5], v[8:9], -v[0:1]
	v_mul_f64 v[0:1], v[4:5], v[10:11]
	v_fma_f64 v[22:23], v[6:7], v[8:9], v[0:1]
	global_load_dwordx4 v[8:11], v[12:13], off offset:736
	ds_read_b128 v[4:7], v16 offset:6240
	ds_write_b128 v16, v[20:23] offset:12480
	s_waitcnt vmcnt(0) lgkmcnt(1)
	v_mul_f64 v[0:1], v[6:7], v[10:11]
	v_fma_f64 v[20:21], v[4:5], v[8:9], -v[0:1]
	v_mul_f64 v[0:1], v[4:5], v[10:11]
	v_fma_f64 v[22:23], v[6:7], v[8:9], v[0:1]
	v_add_co_u32_e64 v0, s[0:1], s0, v2
	v_addc_co_u32_e64 v1, s[0:1], 0, v3, s[0:1]
	global_load_dwordx4 v[0:3], v[0:1], off offset:32
	ds_read_b128 v[4:7], v16 offset:13728
	ds_write_b128 v16, v[20:23] offset:6240
	s_waitcnt vmcnt(0) lgkmcnt(1)
	v_mul_f64 v[8:9], v[6:7], v[2:3]
	v_mul_f64 v[2:3], v[4:5], v[2:3]
	v_fma_f64 v[8:9], v[4:5], v[0:1], -v[8:9]
	v_fma_f64 v[10:11], v[6:7], v[0:1], v[2:3]
	ds_write_b128 v16, v[8:11] offset:13728
	s_waitcnt lgkmcnt(0)
	s_barrier
	ds_read_b128 v[0:3], v16
	ds_read_b128 v[4:7], v16 offset:7488
	ds_read_b128 v[8:11], v16 offset:1248
	;; [unrolled: 1-line block ×11, first 2 shown]
	s_waitcnt lgkmcnt(10)
	v_add_f64 v[4:5], v[0:1], -v[4:5]
	v_add_f64 v[6:7], v[2:3], -v[6:7]
	s_waitcnt lgkmcnt(8)
	v_add_f64 v[20:21], v[8:9], -v[20:21]
	v_add_f64 v[22:23], v[10:11], -v[22:23]
	;; [unrolled: 3-line block ×5, first 2 shown]
	v_fma_f64 v[0:1], v[0:1], 2.0, -v[4:5]
	v_fma_f64 v[2:3], v[2:3], 2.0, -v[6:7]
	s_waitcnt lgkmcnt(0)
	v_add_f64 v[208:209], v[204:205], -v[208:209]
	v_add_f64 v[210:211], v[206:207], -v[210:211]
	v_fma_f64 v[8:9], v[8:9], 2.0, -v[20:21]
	v_fma_f64 v[10:11], v[10:11], 2.0, -v[22:23]
	;; [unrolled: 1-line block ×10, first 2 shown]
	s_barrier
	ds_write_b128 v224, v[0:3]
	ds_write_b128 v224, v[4:7] offset:16
	ds_write_b128 v226, v[8:11]
	ds_write_b128 v226, v[20:23] offset:16
	;; [unrolled: 2-line block ×6, first 2 shown]
	s_waitcnt lgkmcnt(0)
	s_barrier
	ds_read_b128 v[0:3], v16
	ds_read_b128 v[4:7], v16 offset:7488
	ds_read_b128 v[8:11], v16 offset:1248
	;; [unrolled: 1-line block ×11, first 2 shown]
	s_waitcnt lgkmcnt(10)
	v_mul_f64 v[12:13], v[138:139], v[6:7]
	s_waitcnt lgkmcnt(4)
	v_mul_f64 v[36:37], v[138:139], v[192:193]
	s_waitcnt lgkmcnt(2)
	v_mul_f64 v[38:39], v[138:139], v[198:199]
	v_mul_f64 v[40:41], v[138:139], v[196:197]
	s_waitcnt lgkmcnt(0)
	v_mul_f64 v[42:43], v[138:139], v[202:203]
	v_mul_f64 v[44:45], v[138:139], v[200:201]
	s_barrier
	v_fma_f64 v[12:13], v[136:137], v[4:5], v[12:13]
	v_mul_f64 v[4:5], v[138:139], v[4:5]
	v_fma_f64 v[38:39], v[136:137], v[196:197], v[38:39]
	v_fma_f64 v[40:41], v[136:137], v[198:199], -v[40:41]
	v_fma_f64 v[36:37], v[136:137], v[194:195], -v[36:37]
	v_fma_f64 v[42:43], v[136:137], v[200:201], v[42:43]
	v_fma_f64 v[44:45], v[136:137], v[202:203], -v[44:45]
	v_fma_f64 v[4:5], v[136:137], v[6:7], -v[4:5]
	v_mul_f64 v[6:7], v[138:139], v[22:23]
	v_add_f64 v[220:221], v[208:209], -v[38:39]
	v_add_f64 v[222:223], v[210:211], -v[40:41]
	;; [unrolled: 1-line block ×3, first 2 shown]
	v_fma_f64 v[6:7], v[136:137], v[20:21], v[6:7]
	v_mul_f64 v[20:21], v[138:139], v[20:21]
	v_fma_f64 v[224:225], v[208:209], 2.0, -v[220:221]
	v_fma_f64 v[226:227], v[210:211], 2.0, -v[222:223]
	v_add_f64 v[208:209], v[212:213], -v[42:43]
	v_add_f64 v[210:211], v[214:215], -v[44:45]
	v_fma_f64 v[230:231], v[34:35], 2.0, -v[234:235]
	v_add_f64 v[200:201], v[8:9], -v[6:7]
	v_fma_f64 v[20:21], v[136:137], v[22:23], -v[20:21]
	v_mul_f64 v[22:23], v[138:139], v[30:31]
	v_fma_f64 v[212:213], v[212:213], 2.0, -v[208:209]
	v_fma_f64 v[214:215], v[214:215], 2.0, -v[210:211]
	;; [unrolled: 1-line block ×3, first 2 shown]
	v_add_f64 v[202:203], v[10:11], -v[20:21]
	v_fma_f64 v[22:23], v[136:137], v[28:29], v[22:23]
	v_mul_f64 v[28:29], v[138:139], v[28:29]
	v_fma_f64 v[198:199], v[10:11], 2.0, -v[202:203]
	v_add_f64 v[216:217], v[24:25], -v[22:23]
	v_fma_f64 v[28:29], v[136:137], v[30:31], -v[28:29]
	v_mul_f64 v[30:31], v[138:139], v[194:195]
	v_add_f64 v[194:195], v[2:3], -v[4:5]
	v_fma_f64 v[204:205], v[24:25], 2.0, -v[216:217]
	v_add_f64 v[218:219], v[26:27], -v[28:29]
	v_fma_f64 v[30:31], v[136:137], v[192:193], v[30:31]
	v_add_f64 v[192:193], v[0:1], -v[12:13]
	v_fma_f64 v[138:139], v[2:3], 2.0, -v[194:195]
	v_fma_f64 v[206:207], v[26:27], 2.0, -v[218:219]
	v_add_f64 v[232:233], v[32:33], -v[30:31]
	v_fma_f64 v[136:137], v[0:1], 2.0, -v[192:193]
	v_fma_f64 v[228:229], v[32:33], 2.0, -v[232:233]
	ds_write_b128 v245, v[136:139]
	ds_write_b128 v245, v[192:195] offset:32
	ds_write_b128 v246, v[196:199]
	ds_write_b128 v246, v[200:203] offset:32
	;; [unrolled: 2-line block ×6, first 2 shown]
	s_waitcnt lgkmcnt(0)
	s_barrier
	s_and_saveexec_b64 s[0:1], vcc
	s_cbranch_execz .LBB0_7
; %bb.6:
	ds_read_b128 v[136:139], v16
	ds_read_b128 v[192:195], v16 offset:1152
	ds_read_b128 v[196:199], v16 offset:2304
	;; [unrolled: 1-line block ×12, first 2 shown]
.LBB0_7:
	s_or_b64 exec, exec, s[0:1]
	v_add_u32_e32 v246, 0x9c0, v16
	v_add_u32_e32 v245, 0xea0, v16
	s_waitcnt lgkmcnt(0)
	s_barrier
	s_and_saveexec_b64 s[0:1], vcc
	s_cbranch_execz .LBB0_9
; %bb.8:
	v_mul_f64 v[0:1], v[146:147], v[230:231]
	buffer_store_dword v241, off, s[52:55], 0 offset:216 ; 4-byte Folded Spill
	buffer_store_dword v242, off, s[52:55], 0 offset:224 ; 4-byte Folded Spill
	v_mul_f64 v[4:5], v[122:123], v[206:207]
	v_mul_f64 v[6:7], v[118:119], v[202:203]
	;; [unrolled: 1-line block ×4, first 2 shown]
	s_mov_b32 s26, 0x4bc48dbf
	s_mov_b32 s27, 0xbfcea1e5
	v_fma_f64 v[2:3], v[144:145], v[228:229], v[0:1]
	v_mul_f64 v[0:1], v[142:143], v[234:235]
	s_mov_b32 s28, 0x93053d00
	s_mov_b32 s23, 0x3fddbe06
	s_mov_b32 s22, 0x4267c47c
	s_mov_b32 s29, 0xbfef11f4
	s_mov_b32 s20, 0x24c2f84
	s_mov_b32 s18, 0xe00740e9
	v_mov_b32_e32 v15, v3
	v_fma_f64 v[0:1], v[140:141], v[232:233], v[0:1]
	v_mov_b32_e32 v14, v2
	buffer_store_dword v14, off, s[52:55], 0 offset:272 ; 4-byte Folded Spill
	s_nop 0
	buffer_store_dword v15, off, s[52:55], 0 offset:276 ; 4-byte Folded Spill
	s_mov_b32 s21, 0xbfe5384d
	s_mov_b32 s19, 0x3fec55a7
	;; [unrolled: 1-line block ×5, first 2 shown]
	v_add_f64 v[241:242], v[2:3], -v[0:1]
	v_mul_f64 v[2:3], v[150:151], v[218:219]
	v_mov_b32_e32 v13, v1
	v_mov_b32_e32 v12, v0
	v_mul_f64 v[0:1], v[146:147], v[228:229]
	buffer_store_dword v12, off, s[52:55], 0 offset:264 ; 4-byte Folded Spill
	s_nop 0
	buffer_store_dword v13, off, s[52:55], 0 offset:268 ; 4-byte Folded Spill
	buffer_store_dword v243, off, s[52:55], 0 offset:232 ; 4-byte Folded Spill
	;; [unrolled: 1-line block ×3, first 2 shown]
	s_mov_b32 s17, 0xbfe7f3cc
	s_mov_b32 s6, 0x2ef20147
	v_fma_f64 v[146:147], v[148:149], v[216:217], v[2:3]
	v_mul_f64 v[2:3], v[134:135], v[226:227]
	s_mov_b32 s14, 0x1ea71119
	v_fma_f64 v[228:229], v[144:145], v[230:231], -v[0:1]
	v_mul_f64 v[0:1], v[142:143], v[232:233]
	s_mov_b32 s7, 0xbfedeba7
	s_mov_b32 s15, 0x3fe22d96
	;; [unrolled: 1-line block ×4, first 2 shown]
	v_fma_f64 v[2:3], v[132:133], v[224:225], v[2:3]
	s_mov_b32 s25, 0x3fefc445
	s_mov_b32 s13, 0xbfd6b1d8
	v_fma_f64 v[230:231], v[140:141], v[234:235], -v[0:1]
	v_mul_f64 v[20:21], v[241:242], s[24:25]
	s_mov_b32 s4, 0xebaa3ed8
	s_mov_b32 s5, 0x3fbedb7d
	;; [unrolled: 1-line block ×3, first 2 shown]
	v_mov_b32_e32 v19, v3
	v_add_f64 v[243:244], v[146:147], -v[2:3]
	v_mov_b32_e32 v18, v2
	v_mul_f64 v[2:3], v[150:151], v[216:217]
	v_fma_f64 v[216:217], v[120:121], v[204:205], v[4:5]
	v_mul_f64 v[4:5], v[162:163], v[222:223]
	buffer_store_dword v18, off, s[52:55], 0 offset:256 ; 4-byte Folded Spill
	s_nop 0
	buffer_store_dword v19, off, s[52:55], 0 offset:260 ; 4-byte Folded Spill
	buffer_store_dword v250, off, s[52:55], 0 offset:248 ; 4-byte Folded Spill
	v_add_f64 v[232:233], v[228:229], v[230:231]
	v_mul_f64 v[22:23], v[243:244], s[6:7]
	buffer_store_dword v237, off, s[52:55], 0 offset:192 ; 4-byte Folded Spill
	buffer_store_dword v238, off, s[52:55], 0 offset:196 ; 4-byte Folded Spill
	v_fma_f64 v[218:219], v[148:149], v[218:219], -v[2:3]
	v_mul_f64 v[2:3], v[134:135], v[224:225]
	v_fma_f64 v[148:149], v[160:161], v[220:221], v[4:5]
	v_mul_f64 v[4:5], v[122:123], v[204:205]
	v_fma_f64 v[204:205], v[116:117], v[200:201], v[6:7]
	v_mul_f64 v[6:7], v[130:131], v[214:215]
	buffer_store_dword v239, off, s[52:55], 0 offset:200 ; 4-byte Folded Spill
	buffer_store_dword v240, off, s[52:55], 0 offset:208 ; 4-byte Folded Spill
	v_fma_f64 v[0:1], v[232:233], s[4:5], v[20:21]
	v_fma_f64 v[20:21], v[232:233], s[4:5], -v[20:21]
	v_fma_f64 v[224:225], v[132:133], v[226:227], -v[2:3]
	v_add_f64 v[245:246], v[216:217], -v[148:149]
	v_fma_f64 v[226:227], v[120:121], v[206:207], -v[4:5]
	v_mul_f64 v[4:5], v[162:163], v[220:221]
	v_add_f64 v[253:254], v[216:217], v[148:149]
	s_mov_b32 s30, s36
	s_mov_b32 s41, 0x3fcea1e5
	;; [unrolled: 1-line block ×3, first 2 shown]
	v_add_f64 v[234:235], v[218:219], v[224:225]
	v_mul_f64 v[24:25], v[245:246], s[36:37]
	s_mov_b32 s39, 0x3fe5384d
	v_fma_f64 v[206:207], v[160:161], v[222:223], -v[4:5]
	v_fma_f64 v[160:161], v[128:129], v[212:213], v[6:7]
	v_mul_f64 v[6:7], v[118:119], v[200:201]
	v_fma_f64 v[200:201], v[108:109], v[196:197], v[8:9]
	v_mul_f64 v[8:9], v[126:127], v[210:211]
	v_fma_f64 v[2:3], v[234:235], s[12:13], v[22:23]
	v_fma_f64 v[22:23], v[234:235], s[12:13], -v[22:23]
	s_mov_b32 s38, s20
	v_add_f64 v[222:223], v[226:227], v[206:207]
	v_add_f64 v[247:248], v[204:205], -v[160:161]
	v_fma_f64 v[220:221], v[116:117], v[202:203], -v[6:7]
	v_mul_f64 v[6:7], v[130:131], v[212:213]
	v_fma_f64 v[150:151], v[124:125], v[208:209], v[8:9]
	v_mul_f64 v[8:9], v[110:111], v[196:197]
	s_mov_b32 s35, 0xbfefc445
	s_mov_b32 s34, s24
	v_fma_f64 v[4:5], v[222:223], s[14:15], v[24:25]
	v_mul_f64 v[26:27], v[247:248], s[20:21]
	v_fma_f64 v[24:25], v[222:223], s[14:15], -v[24:25]
	v_fma_f64 v[202:203], v[128:129], v[214:215], -v[6:7]
	v_add_f64 v[214:215], v[200:201], -v[150:151]
	v_fma_f64 v[198:199], v[108:109], v[198:199], -v[8:9]
	v_mul_f64 v[8:9], v[126:127], v[208:209]
	v_fma_f64 v[208:209], v[88:89], v[192:193], v[10:11]
	v_mul_f64 v[10:11], v[114:115], v[190:191]
	v_add_f64 v[237:238], v[200:201], v[150:151]
	v_add_f64 v[212:213], v[220:221], v[202:203]
	v_mul_f64 v[28:29], v[214:215], s[22:23]
	v_fma_f64 v[196:197], v[124:125], v[210:211], -v[8:9]
	v_fma_f64 v[162:163], v[112:113], v[188:189], v[10:11]
	v_mul_f64 v[10:11], v[90:91], v[192:193]
	v_fma_f64 v[6:7], v[212:213], s[16:17], v[26:27]
	v_fma_f64 v[26:27], v[212:213], s[16:17], -v[26:27]
	v_add_f64 v[210:211], v[198:199], v[196:197]
	v_add_f64 v[249:250], v[208:209], -v[162:163]
	v_fma_f64 v[192:193], v[88:89], v[194:195], -v[10:11]
	v_mul_f64 v[10:11], v[114:115], v[188:189]
	v_add_f64 v[194:195], v[14:15], v[12:13]
	v_add_f64 v[239:240], v[208:209], v[162:163]
	v_fma_f64 v[8:9], v[210:211], s[18:19], v[28:29]
	v_fma_f64 v[28:29], v[210:211], s[18:19], -v[28:29]
	v_mul_f64 v[30:31], v[249:250], s[26:27]
	v_fma_f64 v[188:189], v[112:113], v[190:191], -v[10:11]
	v_add_f64 v[251:252], v[146:147], v[18:19]
	v_add_f64 v[190:191], v[192:193], v[188:189]
	v_add_f64 v[12:13], v[192:193], -v[188:189]
	v_fma_f64 v[10:11], v[190:191], s[28:29], v[30:31]
	v_mul_f64 v[112:113], v[12:13], s[26:27]
	v_fma_f64 v[30:31], v[190:191], s[28:29], -v[30:31]
	v_mul_f64 v[120:121], v[12:13], s[20:21]
	v_mul_f64 v[128:129], v[12:13], s[6:7]
	;; [unrolled: 1-line block ×4, first 2 shown]
	v_add_f64 v[10:11], v[138:139], v[10:11]
	v_fma_f64 v[110:111], v[239:240], s[28:29], -v[112:113]
	v_add_f64 v[30:31], v[138:139], v[30:31]
	v_fma_f64 v[118:119], v[239:240], s[16:17], -v[120:121]
	v_fma_f64 v[126:127], v[239:240], s[12:13], -v[128:129]
	v_fma_f64 v[134:135], v[239:240], s[4:5], -v[140:141]
	v_fma_f64 v[144:145], v[239:240], s[14:15], -v[18:19]
	v_fma_f64 v[18:19], v[239:240], s[14:15], v[18:19]
	v_add_f64 v[8:9], v[8:9], v[10:11]
	v_add_f64 v[10:11], v[198:199], -v[196:197]
	v_add_f64 v[110:111], v[136:137], v[110:111]
	v_add_f64 v[28:29], v[28:29], v[30:31]
	v_fma_f64 v[30:31], v[239:240], s[28:29], v[112:113]
	v_add_f64 v[118:119], v[136:137], v[118:119]
	v_add_f64 v[126:127], v[136:137], v[126:127]
	;; [unrolled: 1-line block ×4, first 2 shown]
	v_add_f64 v[8:9], v[220:221], -v[202:203]
	v_mul_f64 v[108:109], v[10:11], s[22:23]
	v_add_f64 v[26:27], v[26:27], v[28:29]
	v_add_f64 v[30:31], v[136:137], v[30:31]
	v_mul_f64 v[116:117], v[10:11], s[24:25]
	v_mul_f64 v[124:125], v[10:11], s[38:39]
	;; [unrolled: 1-line block ×3, first 2 shown]
	v_add_f64 v[4:5], v[4:5], v[6:7]
	v_add_f64 v[6:7], v[226:227], -v[206:207]
	v_mul_f64 v[44:45], v[8:9], s[20:21]
	v_fma_f64 v[88:89], v[237:238], s[18:19], -v[108:109]
	v_add_f64 v[24:25], v[24:25], v[26:27]
	v_fma_f64 v[28:29], v[237:238], s[18:19], v[108:109]
	v_fma_f64 v[112:113], v[237:238], s[4:5], -v[116:117]
	v_mul_f64 v[14:15], v[10:11], s[6:7]
	v_add_f64 v[2:3], v[2:3], v[4:5]
	v_add_f64 v[4:5], v[218:219], -v[224:225]
	v_mul_f64 v[40:41], v[6:7], s[36:37]
	v_add_f64 v[88:89], v[88:89], v[110:111]
	v_add_f64 v[22:23], v[22:23], v[24:25]
	;; [unrolled: 1-line block ×7, first 2 shown]
	v_add_f64 v[2:3], v[228:229], -v[230:231]
	v_mul_f64 v[36:37], v[4:5], s[6:7]
	v_fma_f64 v[42:43], v[253:254], s[14:15], -v[40:41]
	v_fma_f64 v[24:25], v[253:254], s[14:15], v[40:41]
	v_mul_f64 v[40:41], v[249:250], s[20:21]
	v_add_f64 v[110:111], v[20:21], v[22:23]
	v_add_f64 v[18:19], v[136:137], v[18:19]
	v_fma_f64 v[46:47], v[0:1], s[16:17], -v[44:45]
	v_mul_f64 v[32:33], v[2:3], s[24:25]
	v_fma_f64 v[38:39], v[251:252], s[12:13], -v[36:37]
	v_fma_f64 v[22:23], v[251:252], s[12:13], v[36:37]
	v_fma_f64 v[26:27], v[0:1], s[16:17], v[44:45]
	v_mul_f64 v[36:37], v[214:215], s[24:25]
	v_mul_f64 v[44:45], v[8:9], s[30:31]
	v_mul_f64 v[10:11], v[10:11], s[30:31]
	v_add_f64 v[46:47], v[46:47], v[88:89]
	v_fma_f64 v[34:35], v[194:195], s[4:5], -v[32:33]
	v_fma_f64 v[20:21], v[194:195], s[4:5], v[32:33]
	v_mul_f64 v[32:33], v[247:248], s[30:31]
	v_add_f64 v[26:27], v[26:27], v[28:29]
	v_mul_f64 v[28:29], v[245:246], s[40:41]
	v_add_f64 v[42:43], v[42:43], v[46:47]
	v_fma_f64 v[46:47], v[0:1], s[14:15], -v[44:45]
	v_add_f64 v[24:25], v[24:25], v[26:27]
	v_fma_f64 v[30:31], v[222:223], s[28:29], v[28:29]
	v_add_f64 v[38:39], v[38:39], v[42:43]
	v_fma_f64 v[42:43], v[190:191], s[16:17], v[40:41]
	v_add_f64 v[46:47], v[46:47], v[112:113]
	v_add_f64 v[22:23], v[22:23], v[24:25]
	v_mul_f64 v[24:25], v[243:244], s[22:23]
	v_add_f64 v[88:89], v[34:35], v[38:39]
	v_fma_f64 v[38:39], v[210:211], s[4:5], v[36:37]
	v_add_f64 v[42:43], v[138:139], v[42:43]
	v_fma_f64 v[34:35], v[212:213], s[14:15], v[32:33]
	v_add_f64 v[108:109], v[20:21], v[22:23]
	v_mul_f64 v[20:21], v[241:242], s[6:7]
	v_fma_f64 v[26:27], v[234:235], s[18:19], v[24:25]
	v_fma_f64 v[24:25], v[234:235], s[18:19], -v[24:25]
	v_add_f64 v[38:39], v[38:39], v[42:43]
	v_fma_f64 v[22:23], v[232:233], s[12:13], v[20:21]
	v_fma_f64 v[20:21], v[232:233], s[12:13], -v[20:21]
	v_add_f64 v[34:35], v[34:35], v[38:39]
	v_mul_f64 v[38:39], v[6:7], s[40:41]
	v_add_f64 v[30:31], v[30:31], v[34:35]
	v_fma_f64 v[42:43], v[253:254], s[28:29], -v[38:39]
	v_add_f64 v[26:27], v[26:27], v[30:31]
	v_mul_f64 v[30:31], v[4:5], s[22:23]
	v_add_f64 v[42:43], v[42:43], v[46:47]
	v_add_f64 v[114:115], v[22:23], v[26:27]
	v_mul_f64 v[22:23], v[2:3], s[6:7]
	v_fma_f64 v[34:35], v[251:252], s[18:19], -v[30:31]
	v_fma_f64 v[26:27], v[194:195], s[12:13], -v[22:23]
	v_add_f64 v[34:35], v[34:35], v[42:43]
	v_add_f64 v[112:113], v[26:27], v[34:35]
	v_fma_f64 v[34:35], v[190:191], s[16:17], -v[40:41]
	v_fma_f64 v[26:27], v[222:223], s[28:29], -v[28:29]
	;; [unrolled: 1-line block ×4, first 2 shown]
	v_mul_f64 v[40:41], v[249:250], s[6:7]
	v_mul_f64 v[36:37], v[214:215], s[38:39]
	v_add_f64 v[34:35], v[138:139], v[34:35]
	v_fma_f64 v[42:43], v[190:191], s[12:13], v[40:41]
	v_add_f64 v[32:33], v[32:33], v[34:35]
	v_add_f64 v[42:43], v[138:139], v[42:43]
	;; [unrolled: 1-line block ×3, first 2 shown]
	v_mul_f64 v[32:33], v[247:248], s[22:23]
	v_add_f64 v[26:27], v[26:27], v[28:29]
	v_fma_f64 v[28:29], v[237:238], s[4:5], v[116:117]
	v_fma_f64 v[34:35], v[212:213], s[18:19], v[32:33]
	v_add_f64 v[24:25], v[24:25], v[26:27]
	v_fma_f64 v[26:27], v[0:1], s[14:15], v[44:45]
	v_mul_f64 v[44:45], v[8:9], s[22:23]
	v_add_f64 v[118:119], v[20:21], v[24:25]
	v_fma_f64 v[20:21], v[194:195], s[12:13], v[22:23]
	v_fma_f64 v[22:23], v[251:252], s[18:19], v[30:31]
	;; [unrolled: 1-line block ×5, first 2 shown]
	v_fma_f64 v[120:121], v[237:238], s[16:17], -v[124:125]
	v_fma_f64 v[46:47], v[0:1], s[18:19], -v[44:45]
	v_add_f64 v[30:31], v[136:137], v[30:31]
	v_add_f64 v[38:39], v[38:39], v[42:43]
	;; [unrolled: 1-line block ×5, first 2 shown]
	v_mul_f64 v[38:39], v[6:7], s[34:35]
	v_add_f64 v[46:47], v[46:47], v[120:121]
	v_add_f64 v[26:27], v[26:27], v[28:29]
	v_mul_f64 v[28:29], v[245:246], s[34:35]
	v_fma_f64 v[42:43], v[253:254], s[4:5], -v[38:39]
	v_add_f64 v[24:25], v[24:25], v[26:27]
	v_fma_f64 v[30:31], v[222:223], s[4:5], v[28:29]
	v_add_f64 v[42:43], v[42:43], v[46:47]
	v_add_f64 v[22:23], v[22:23], v[24:25]
	v_mul_f64 v[24:25], v[243:244], s[40:41]
	v_add_f64 v[30:31], v[30:31], v[34:35]
	v_add_f64 v[116:117], v[20:21], v[22:23]
	v_mul_f64 v[20:21], v[241:242], s[36:37]
	v_fma_f64 v[26:27], v[234:235], s[28:29], v[24:25]
	v_fma_f64 v[24:25], v[234:235], s[28:29], -v[24:25]
	v_fma_f64 v[22:23], v[232:233], s[14:15], v[20:21]
	v_add_f64 v[26:27], v[26:27], v[30:31]
	v_mul_f64 v[30:31], v[4:5], s[40:41]
	v_fma_f64 v[20:21], v[232:233], s[14:15], -v[20:21]
	v_add_f64 v[122:123], v[22:23], v[26:27]
	v_mul_f64 v[22:23], v[2:3], s[36:37]
	v_fma_f64 v[34:35], v[251:252], s[28:29], -v[30:31]
	s_mov_b32 s37, 0x3fedeba7
	s_mov_b32 s36, s6
	v_fma_f64 v[26:27], v[194:195], s[14:15], -v[22:23]
	v_add_f64 v[34:35], v[34:35], v[42:43]
	v_add_f64 v[120:121], v[26:27], v[34:35]
	v_fma_f64 v[34:35], v[190:191], s[12:13], -v[40:41]
	v_fma_f64 v[26:27], v[222:223], s[4:5], -v[28:29]
	;; [unrolled: 1-line block ×4, first 2 shown]
	v_mul_f64 v[40:41], v[249:250], s[34:35]
	v_mul_f64 v[36:37], v[214:215], s[26:27]
	v_add_f64 v[34:35], v[138:139], v[34:35]
	v_fma_f64 v[42:43], v[190:191], s[4:5], v[40:41]
	v_add_f64 v[32:33], v[32:33], v[34:35]
	v_add_f64 v[42:43], v[138:139], v[42:43]
	;; [unrolled: 1-line block ×3, first 2 shown]
	v_mul_f64 v[32:33], v[247:248], s[36:37]
	v_add_f64 v[26:27], v[26:27], v[28:29]
	v_fma_f64 v[28:29], v[237:238], s[16:17], v[124:125]
	v_fma_f64 v[34:35], v[212:213], s[12:13], v[32:33]
	v_add_f64 v[24:25], v[24:25], v[26:27]
	v_fma_f64 v[26:27], v[0:1], s[18:19], v[44:45]
	v_mul_f64 v[44:45], v[8:9], s[36:37]
	v_add_f64 v[126:127], v[20:21], v[24:25]
	v_fma_f64 v[20:21], v[194:195], s[14:15], v[22:23]
	v_fma_f64 v[22:23], v[251:252], s[28:29], v[30:31]
	;; [unrolled: 1-line block ×5, first 2 shown]
	v_fma_f64 v[128:129], v[237:238], s[28:29], -v[132:133]
	v_fma_f64 v[46:47], v[0:1], s[12:13], -v[44:45]
	v_add_f64 v[30:31], v[136:137], v[30:31]
	v_add_f64 v[38:39], v[38:39], v[42:43]
	;; [unrolled: 1-line block ×5, first 2 shown]
	v_mul_f64 v[38:39], v[6:7], s[22:23]
	v_add_f64 v[46:47], v[46:47], v[128:129]
	v_add_f64 v[26:27], v[26:27], v[28:29]
	v_mul_f64 v[28:29], v[245:246], s[22:23]
	v_fma_f64 v[42:43], v[253:254], s[18:19], -v[38:39]
	v_add_f64 v[24:25], v[24:25], v[26:27]
	v_fma_f64 v[30:31], v[222:223], s[18:19], v[28:29]
	v_add_f64 v[42:43], v[42:43], v[46:47]
	v_add_f64 v[22:23], v[22:23], v[24:25]
	v_mul_f64 v[24:25], v[243:244], s[30:31]
	v_add_f64 v[30:31], v[30:31], v[34:35]
	v_add_f64 v[124:125], v[20:21], v[22:23]
	v_mul_f64 v[20:21], v[241:242], s[20:21]
	v_fma_f64 v[26:27], v[234:235], s[14:15], v[24:25]
	v_fma_f64 v[24:25], v[234:235], s[14:15], -v[24:25]
	v_fma_f64 v[22:23], v[232:233], s[16:17], v[20:21]
	v_add_f64 v[26:27], v[26:27], v[30:31]
	v_mul_f64 v[30:31], v[4:5], s[30:31]
	v_fma_f64 v[20:21], v[232:233], s[16:17], -v[20:21]
	v_add_f64 v[130:131], v[22:23], v[26:27]
	v_mul_f64 v[22:23], v[2:3], s[20:21]
	v_fma_f64 v[34:35], v[251:252], s[14:15], -v[30:31]
	v_fma_f64 v[26:27], v[194:195], s[16:17], -v[22:23]
	v_add_f64 v[34:35], v[34:35], v[42:43]
	v_add_f64 v[128:129], v[26:27], v[34:35]
	v_fma_f64 v[34:35], v[190:191], s[4:5], -v[40:41]
	v_fma_f64 v[26:27], v[222:223], s[18:19], -v[28:29]
	;; [unrolled: 1-line block ×4, first 2 shown]
	v_mul_f64 v[40:41], v[249:250], s[30:31]
	v_mul_f64 v[36:37], v[214:215], s[6:7]
	v_add_f64 v[34:35], v[138:139], v[34:35]
	v_fma_f64 v[42:43], v[190:191], s[14:15], v[40:41]
	v_add_f64 v[32:33], v[32:33], v[34:35]
	v_add_f64 v[42:43], v[138:139], v[42:43]
	;; [unrolled: 1-line block ×3, first 2 shown]
	v_mul_f64 v[32:33], v[247:248], s[26:27]
	v_add_f64 v[26:27], v[26:27], v[28:29]
	v_fma_f64 v[28:29], v[237:238], s[28:29], v[132:133]
	v_fma_f64 v[34:35], v[212:213], s[28:29], v[32:33]
	v_add_f64 v[24:25], v[24:25], v[26:27]
	v_fma_f64 v[26:27], v[0:1], s[12:13], v[44:45]
	v_mul_f64 v[44:45], v[8:9], s[26:27]
	v_mul_f64 v[8:9], v[8:9], s[34:35]
	v_add_f64 v[134:135], v[20:21], v[24:25]
	v_fma_f64 v[20:21], v[194:195], s[16:17], v[22:23]
	v_fma_f64 v[22:23], v[251:252], s[14:15], v[30:31]
	;; [unrolled: 1-line block ×5, first 2 shown]
	v_fma_f64 v[140:141], v[237:238], s[12:13], -v[14:15]
	v_fma_f64 v[46:47], v[0:1], s[28:29], -v[44:45]
	v_fma_f64 v[14:15], v[237:238], s[12:13], v[14:15]
	v_add_f64 v[30:31], v[136:137], v[30:31]
	v_add_f64 v[38:39], v[38:39], v[42:43]
	;; [unrolled: 1-line block ×6, first 2 shown]
	v_mul_f64 v[38:39], v[6:7], s[38:39]
	v_add_f64 v[46:47], v[46:47], v[140:141]
	v_mul_f64 v[6:7], v[6:7], s[6:7]
	v_add_f64 v[26:27], v[26:27], v[28:29]
	v_mul_f64 v[28:29], v[245:246], s[38:39]
	v_fma_f64 v[42:43], v[253:254], s[16:17], -v[38:39]
	v_add_f64 v[24:25], v[24:25], v[26:27]
	v_fma_f64 v[30:31], v[222:223], s[16:17], v[28:29]
	v_add_f64 v[42:43], v[42:43], v[46:47]
	v_add_f64 v[22:23], v[22:23], v[24:25]
	v_mul_f64 v[24:25], v[243:244], s[24:25]
	v_add_f64 v[30:31], v[30:31], v[34:35]
	v_add_f64 v[132:133], v[20:21], v[22:23]
	v_mul_f64 v[20:21], v[241:242], s[22:23]
	v_fma_f64 v[26:27], v[234:235], s[4:5], v[24:25]
	v_fma_f64 v[22:23], v[232:233], s[18:19], v[20:21]
	v_add_f64 v[26:27], v[26:27], v[30:31]
	v_mul_f64 v[30:31], v[4:5], s[24:25]
	v_fma_f64 v[20:21], v[232:233], s[18:19], -v[20:21]
	v_mul_f64 v[4:5], v[4:5], s[20:21]
	v_add_f64 v[142:143], v[22:23], v[26:27]
	v_mul_f64 v[26:27], v[2:3], s[22:23]
	v_fma_f64 v[34:35], v[251:252], s[4:5], -v[30:31]
	s_mov_b32 s23, 0xbfddbe06
	v_mul_f64 v[12:13], v[12:13], s[22:23]
	v_fma_f64 v[22:23], v[194:195], s[18:19], -v[26:27]
	v_add_f64 v[34:35], v[34:35], v[42:43]
	v_add_f64 v[140:141], v[22:23], v[34:35]
	v_fma_f64 v[34:35], v[190:191], s[14:15], -v[40:41]
	v_fma_f64 v[22:23], v[234:235], s[4:5], -v[24:25]
	;; [unrolled: 1-line block ×5, first 2 shown]
	v_mul_f64 v[40:41], v[249:250], s[22:23]
	v_mul_f64 v[36:37], v[214:215], s[30:31]
	v_add_f64 v[34:35], v[138:139], v[34:35]
	v_fma_f64 v[42:43], v[190:191], s[18:19], v[40:41]
	v_add_f64 v[32:33], v[32:33], v[34:35]
	v_add_f64 v[42:43], v[138:139], v[42:43]
	;; [unrolled: 1-line block ×3, first 2 shown]
	v_mul_f64 v[32:33], v[247:248], s[34:35]
	v_add_f64 v[24:25], v[24:25], v[28:29]
	v_fma_f64 v[28:29], v[0:1], s[28:29], v[44:45]
	v_fma_f64 v[34:35], v[212:213], s[4:5], v[32:33]
	v_fma_f64 v[44:45], v[239:240], s[18:19], -v[12:13]
	v_add_f64 v[22:23], v[22:23], v[24:25]
	v_add_f64 v[14:15], v[28:29], v[14:15]
	v_fma_f64 v[24:25], v[251:252], s[4:5], v[30:31]
	v_mul_f64 v[30:31], v[245:246], s[6:7]
	v_mul_f64 v[28:29], v[243:244], s[20:21]
	v_add_f64 v[44:45], v[136:137], v[44:45]
	v_add_u32_e32 v246, 0x9c0, v16
	v_add_u32_e32 v245, 0xea0, v16
	v_add_f64 v[22:23], v[20:21], v[22:23]
	v_fma_f64 v[20:21], v[194:195], s[18:19], v[26:27]
	v_fma_f64 v[26:27], v[253:254], s[16:17], v[38:39]
	;; [unrolled: 1-line block ×3, first 2 shown]
	v_add_f64 v[14:15], v[26:27], v[14:15]
	v_add_f64 v[38:39], v[38:39], v[42:43]
	v_fma_f64 v[42:43], v[237:238], s[14:15], -v[10:11]
	v_fma_f64 v[26:27], v[222:223], s[12:13], v[30:31]
	v_add_f64 v[14:15], v[24:25], v[14:15]
	v_add_f64 v[34:35], v[34:35], v[38:39]
	v_fma_f64 v[38:39], v[0:1], s[4:5], -v[8:9]
	v_fma_f64 v[0:1], v[0:1], s[4:5], v[8:9]
	v_fma_f64 v[8:9], v[237:238], s[14:15], v[10:11]
	;; [unrolled: 1-line block ×4, first 2 shown]
	v_add_f64 v[42:43], v[42:43], v[44:45]
	v_add_f64 v[20:21], v[20:21], v[14:15]
	v_mul_f64 v[14:15], v[241:242], s[26:27]
	v_add_f64 v[26:27], v[26:27], v[34:35]
	v_fma_f64 v[34:35], v[253:254], s[12:13], -v[6:7]
	v_fma_f64 v[6:7], v[253:254], s[12:13], v[6:7]
	v_add_f64 v[10:11], v[136:137], v[10:11]
	buffer_load_dword v242, off, s[52:55], 0 offset:224 ; 4-byte Folded Reload
	buffer_load_dword v241, off, s[52:55], 0 offset:216 ; 4-byte Folded Reload
	buffer_load_dword v244, off, s[52:55], 0 offset:240 ; 4-byte Folded Reload
	buffer_load_dword v243, off, s[52:55], 0 offset:232 ; 4-byte Folded Reload
	buffer_load_dword v250, off, s[52:55], 0 offset:248 ; 4-byte Folded Reload
	v_fma_f64 v[18:19], v[232:233], s[28:29], v[14:15]
	v_add_f64 v[24:25], v[24:25], v[26:27]
	buffer_load_dword v238, off, s[52:55], 0 offset:196 ; 4-byte Folded Reload
	buffer_load_dword v237, off, s[52:55], 0 offset:192 ; 4-byte Folded Reload
	;; [unrolled: 1-line block ×4, first 2 shown]
	v_add_f64 v[8:9], v[8:9], v[10:11]
	v_add_f64 v[38:39], v[38:39], v[42:43]
	;; [unrolled: 1-line block ×3, first 2 shown]
	v_fma_f64 v[24:25], v[251:252], s[16:17], -v[4:5]
	v_fma_f64 v[4:5], v[251:252], s[16:17], v[4:5]
	v_add_f64 v[0:1], v[0:1], v[8:9]
	buffer_load_dword v8, off, s[52:55], 0 offset:272 ; 4-byte Folded Reload
	buffer_load_dword v9, off, s[52:55], 0 offset:276 ; 4-byte Folded Reload
	v_mul_f64 v[18:19], v[2:3], s[26:27]
	v_add_f64 v[34:35], v[34:35], v[38:39]
	v_lshl_add_u32 v251, v255, 4, v17
	v_add_f64 v[0:1], v[6:7], v[0:1]
	v_fma_f64 v[2:3], v[194:195], s[28:29], -v[18:19]
	v_add_f64 v[24:25], v[24:25], v[34:35]
	v_fma_f64 v[34:35], v[190:191], s[18:19], -v[40:41]
	v_add_f64 v[0:1], v[4:5], v[0:1]
	v_add_f64 v[4:5], v[138:139], v[192:193]
	;; [unrolled: 1-line block ×3, first 2 shown]
	v_fma_f64 v[2:3], v[232:233], s[28:29], -v[14:15]
	v_fma_f64 v[14:15], v[234:235], s[16:17], -v[28:29]
	;; [unrolled: 1-line block ×5, first 2 shown]
	v_add_f64 v[4:5], v[4:5], v[198:199]
	v_add_f64 v[34:35], v[138:139], v[34:35]
	;; [unrolled: 1-line block ×12, first 2 shown]
	v_fma_f64 v[14:15], v[194:195], s[28:29], v[18:19]
	v_add_f64 v[4:5], v[4:5], v[224:225]
	v_add_f64 v[0:1], v[14:15], v[0:1]
	;; [unrolled: 1-line block ×11, first 2 shown]
	s_waitcnt vmcnt(0)
	v_add_f64 v[4:5], v[4:5], v[8:9]
	buffer_load_dword v8, off, s[52:55], 0 offset:264 ; 4-byte Folded Reload
	buffer_load_dword v9, off, s[52:55], 0 offset:268 ; 4-byte Folded Reload
	s_waitcnt vmcnt(0)
	v_add_f64 v[4:5], v[4:5], v[8:9]
	buffer_load_dword v8, off, s[52:55], 0 offset:256 ; 4-byte Folded Reload
	buffer_load_dword v9, off, s[52:55], 0 offset:260 ; 4-byte Folded Reload
	s_waitcnt vmcnt(0)
	v_add_f64 v[4:5], v[4:5], v[8:9]
	v_lshrrev_b32_e32 v8, 2, v255
	v_mul_u32_u24_e32 v8, 52, v8
	v_and_b32_e32 v9, 3, v255
	v_or_b32_e32 v8, v8, v9
	v_lshl_add_u32 v8, v8, 4, v17
	v_add_f64 v[4:5], v[4:5], v[148:149]
	v_add_f64 v[4:5], v[4:5], v[160:161]
	;; [unrolled: 1-line block ×4, first 2 shown]
	ds_write_b128 v8, v[4:7]
	ds_write_b128 v8, v[0:3] offset:64
	ds_write_b128 v8, v[20:23] offset:128
	;; [unrolled: 1-line block ×12, first 2 shown]
.LBB0_9:
	s_or_b64 exec, exec, s[0:1]
	s_waitcnt lgkmcnt(0)
	s_barrier
	ds_read_b128 v[2:5], v16
	ds_read_b128 v[6:9], v16 offset:1248
	ds_read_b128 v[10:13], v16 offset:7488
	;; [unrolled: 1-line block ×11, first 2 shown]
	s_waitcnt lgkmcnt(9)
	v_mul_f64 v[14:15], v[50:51], v[12:13]
	v_mul_f64 v[17:18], v[50:51], v[10:11]
	s_waitcnt lgkmcnt(8)
	v_mul_f64 v[36:37], v[54:55], v[22:23]
	v_mul_f64 v[38:39], v[54:55], v[20:21]
	;; [unrolled: 3-line block ×4, first 2 shown]
	v_fma_f64 v[10:11], v[48:49], v[10:11], v[14:15]
	v_fma_f64 v[12:13], v[48:49], v[12:13], -v[17:18]
	v_fma_f64 v[14:15], v[52:53], v[20:21], v[36:37]
	v_fma_f64 v[17:18], v[52:53], v[22:23], -v[38:39]
	;; [unrolled: 2-line block ×4, first 2 shown]
	s_waitcnt lgkmcnt(1)
	v_mul_f64 v[40:41], v[66:67], v[118:119]
	v_mul_f64 v[42:43], v[66:67], v[116:117]
	s_waitcnt lgkmcnt(0)
	v_mul_f64 v[44:45], v[70:71], v[122:123]
	v_mul_f64 v[46:47], v[70:71], v[120:121]
	v_add_f64 v[10:11], v[2:3], -v[10:11]
	v_add_f64 v[12:13], v[4:5], -v[12:13]
	;; [unrolled: 1-line block ×4, first 2 shown]
	v_fma_f64 v[14:15], v[64:65], v[116:117], v[40:41]
	v_fma_f64 v[17:18], v[64:65], v[118:119], -v[42:43]
	v_fma_f64 v[40:41], v[68:69], v[120:121], v[44:45]
	v_fma_f64 v[42:43], v[68:69], v[122:123], -v[46:47]
	v_add_f64 v[32:33], v[24:25], -v[32:33]
	v_add_f64 v[34:35], v[26:27], -v[34:35]
	;; [unrolled: 1-line block ×4, first 2 shown]
	v_fma_f64 v[2:3], v[2:3], 2.0, -v[10:11]
	v_fma_f64 v[4:5], v[4:5], 2.0, -v[12:13]
	v_add_f64 v[52:53], v[108:109], -v[14:15]
	v_add_f64 v[54:55], v[110:111], -v[17:18]
	;; [unrolled: 1-line block ×4, first 2 shown]
	v_fma_f64 v[6:7], v[6:7], 2.0, -v[20:21]
	v_fma_f64 v[8:9], v[8:9], 2.0, -v[22:23]
	;; [unrolled: 1-line block ×10, first 2 shown]
	s_barrier
	ds_write_b128 v237, v[2:5]
	ds_write_b128 v237, v[10:13] offset:832
	ds_write_b128 v238, v[6:9]
	ds_write_b128 v238, v[20:23] offset:832
	;; [unrolled: 2-line block ×6, first 2 shown]
	s_waitcnt lgkmcnt(0)
	s_barrier
	ds_read_b128 v[2:5], v16 offset:4992
	ds_read_b128 v[6:9], v16
	ds_read_b128 v[10:13], v16 offset:1248
	ds_read_b128 v[20:23], v16 offset:6240
	;; [unrolled: 1-line block ×4, first 2 shown]
	s_waitcnt lgkmcnt(5)
	v_mul_f64 v[17:18], v[78:79], v[2:3]
	v_mul_f64 v[14:15], v[78:79], v[4:5]
	ds_read_b128 v[32:35], v16 offset:2496
	ds_read_b128 v[48:51], v16 offset:3744
	;; [unrolled: 1-line block ×6, first 2 shown]
	s_waitcnt lgkmcnt(7)
	v_mul_f64 v[36:37], v[74:75], v[26:27]
	v_mul_f64 v[38:39], v[86:87], v[20:21]
	s_waitcnt lgkmcnt(6)
	v_mul_f64 v[40:41], v[82:83], v[30:31]
	v_fma_f64 v[4:5], v[76:77], v[4:5], -v[17:18]
	v_mul_f64 v[17:18], v[86:87], v[22:23]
	v_fma_f64 v[14:15], v[76:77], v[2:3], v[14:15]
	v_mul_f64 v[2:3], v[74:75], v[24:25]
	s_waitcnt lgkmcnt(3)
	v_mul_f64 v[42:43], v[98:99], v[54:55]
	v_fma_f64 v[24:25], v[72:73], v[24:25], v[36:37]
	v_mul_f64 v[36:37], v[82:83], v[28:29]
	v_fma_f64 v[38:39], v[84:85], v[22:23], -v[38:39]
	v_fma_f64 v[28:29], v[80:81], v[28:29], v[40:41]
	v_fma_f64 v[17:18], v[84:85], v[20:21], v[17:18]
	s_waitcnt lgkmcnt(1)
	v_mul_f64 v[19:20], v[94:95], v[62:63]
	v_fma_f64 v[26:27], v[72:73], v[26:27], -v[2:3]
	v_mul_f64 v[2:3], v[98:99], v[52:53]
	v_mul_f64 v[21:22], v[94:95], v[60:61]
	v_fma_f64 v[30:31], v[80:81], v[30:31], -v[36:37]
	v_fma_f64 v[36:37], v[96:97], v[52:53], v[42:43]
	v_add_f64 v[44:45], v[14:15], v[24:25]
	s_waitcnt lgkmcnt(0)
	v_mul_f64 v[52:53], v[102:103], v[64:65]
	v_fma_f64 v[46:47], v[92:93], v[60:61], v[19:20]
	v_mul_f64 v[19:20], v[102:103], v[66:67]
	v_fma_f64 v[40:41], v[96:97], v[54:55], -v[2:3]
	v_mul_f64 v[2:3], v[106:107], v[58:59]
	v_fma_f64 v[54:55], v[92:93], v[62:63], -v[21:22]
	v_add_f64 v[21:22], v[6:7], v[14:15]
	v_mul_f64 v[42:43], v[106:107], v[56:57]
	v_fma_f64 v[44:45], v[44:45], -0.5, v[6:7]
	v_fma_f64 v[66:67], v[100:101], v[66:67], -v[52:53]
	v_fma_f64 v[62:63], v[100:101], v[64:65], v[19:20]
	v_add_f64 v[19:20], v[4:5], v[26:27]
	v_fma_f64 v[60:61], v[104:105], v[56:57], v[2:3]
	v_add_f64 v[56:57], v[4:5], -v[26:27]
	v_add_f64 v[2:3], v[21:22], v[24:25]
	v_add_f64 v[22:23], v[17:18], v[28:29]
	v_add_f64 v[14:15], v[14:15], -v[24:25]
	v_add_f64 v[4:5], v[8:9], v[4:5]
	v_add_f64 v[24:25], v[38:39], v[30:31]
	v_fma_f64 v[52:53], v[19:20], -0.5, v[8:9]
	v_mad_u64_u32 v[0:1], s[0:1], s10, v236, 0
	s_mov_b32 s0, 0xe8584caa
	s_mov_b32 s1, 0xbfebb67a
	;; [unrolled: 1-line block ×4, first 2 shown]
	v_fma_f64 v[6:7], v[56:57], s[0:1], v[44:45]
	v_fma_f64 v[20:21], v[56:57], s[4:5], v[44:45]
	v_fma_f64 v[44:45], v[22:23], -0.5, v[10:11]
	v_fma_f64 v[8:9], v[14:15], s[4:5], v[52:53]
	v_fma_f64 v[22:23], v[14:15], s[0:1], v[52:53]
	v_add_f64 v[14:15], v[12:13], v[38:39]
	v_fma_f64 v[42:43], v[104:105], v[58:59], -v[42:43]
	v_add_f64 v[4:5], v[4:5], v[26:27]
	v_add_f64 v[26:27], v[10:11], v[17:18]
	v_add_f64 v[56:57], v[38:39], -v[30:31]
	v_fma_f64 v[38:39], v[24:25], -0.5, v[12:13]
	v_add_f64 v[17:18], v[17:18], -v[28:29]
	v_add_f64 v[58:59], v[36:37], v[46:47]
	v_add_f64 v[52:53], v[32:33], v[36:37]
	v_add_f64 v[12:13], v[14:15], v[30:31]
	v_add_f64 v[14:15], v[40:41], v[54:55]
	v_add_f64 v[10:11], v[26:27], v[28:29]
	v_add_f64 v[64:65], v[40:41], -v[54:55]
	v_add_f64 v[40:41], v[34:35], v[40:41]
	v_fma_f64 v[26:27], v[17:18], s[4:5], v[38:39]
	v_fma_f64 v[30:31], v[17:18], s[0:1], v[38:39]
	v_add_f64 v[17:18], v[60:61], v[62:63]
	v_add_f64 v[38:39], v[42:43], v[66:67]
	v_fma_f64 v[24:25], v[56:57], s[0:1], v[44:45]
	v_fma_f64 v[58:59], v[58:59], -0.5, v[32:33]
	v_fma_f64 v[28:29], v[56:57], s[4:5], v[44:45]
	v_add_f64 v[32:33], v[52:53], v[46:47]
	v_fma_f64 v[14:15], v[14:15], -0.5, v[34:35]
	v_add_f64 v[36:37], v[36:37], -v[46:47]
	v_add_f64 v[44:45], v[48:49], v[60:61]
	v_add_f64 v[46:47], v[42:43], -v[66:67]
	v_add_f64 v[42:43], v[50:51], v[42:43]
	v_fma_f64 v[17:18], v[17:18], -0.5, v[48:49]
	v_fma_f64 v[38:39], v[38:39], -0.5, v[50:51]
	v_add_f64 v[68:69], v[60:61], -v[62:63]
	v_add_f64 v[34:35], v[40:41], v[54:55]
	v_fma_f64 v[52:53], v[64:65], s[0:1], v[58:59]
	v_fma_f64 v[54:55], v[36:37], s[4:5], v[14:15]
	v_add_f64 v[48:49], v[44:45], v[62:63]
	v_add_f64 v[50:51], v[42:43], v[66:67]
	v_fma_f64 v[56:57], v[64:65], s[4:5], v[58:59]
	v_fma_f64 v[58:59], v[36:37], s[0:1], v[14:15]
	;; [unrolled: 1-line block ×6, first 2 shown]
	s_barrier
	ds_write_b128 v16, v[2:5]
	ds_write_b128 v16, v[6:9] offset:1664
	ds_write_b128 v16, v[20:23] offset:3328
	ds_write_b128 v243, v[10:13]
	ds_write_b128 v243, v[24:27] offset:1664
	ds_write_b128 v243, v[28:31] offset:3328
	;; [unrolled: 3-line block ×3, first 2 shown]
	ds_write_b128 v250, v[48:51] offset:9984
	ds_write_b128 v250, v[60:63] offset:11648
	;; [unrolled: 1-line block ×3, first 2 shown]
	s_waitcnt lgkmcnt(0)
	s_barrier
	ds_read_b128 v[2:5], v16
	ds_read_b128 v[6:9], v16 offset:1248
	ds_read_b128 v[10:13], v16 offset:4992
	;; [unrolled: 1-line block ×7, first 2 shown]
	s_waitcnt lgkmcnt(5)
	v_mul_f64 v[14:15], v[158:159], v[12:13]
	v_mul_f64 v[17:18], v[158:159], v[10:11]
	s_waitcnt lgkmcnt(3)
	v_mul_f64 v[35:36], v[154:155], v[25:26]
	v_mul_f64 v[37:38], v[154:155], v[23:24]
	;; [unrolled: 1-line block ×3, first 2 shown]
	ds_read_b128 v[52:55], v16 offset:7488
	ds_read_b128 v[56:59], v16 offset:8736
	;; [unrolled: 1-line block ×4, first 2 shown]
	v_fma_f64 v[10:11], v[156:157], v[10:11], v[14:15]
	v_mul_f64 v[14:15], v[170:171], v[19:20]
	v_fma_f64 v[12:13], v[156:157], v[12:13], -v[17:18]
	v_fma_f64 v[17:18], v[152:153], v[23:24], v[35:36]
	v_fma_f64 v[25:26], v[152:153], v[25:26], -v[37:38]
	s_waitcnt lgkmcnt(6)
	v_mul_f64 v[35:36], v[166:167], v[27:28]
	v_fma_f64 v[37:38], v[168:169], v[19:20], v[39:40]
	s_waitcnt lgkmcnt(3)
	v_mul_f64 v[19:20], v[178:179], v[54:55]
	v_mul_f64 v[23:24], v[166:167], v[29:30]
	v_fma_f64 v[14:15], v[168:169], v[21:22], -v[14:15]
	s_waitcnt lgkmcnt(1)
	v_mul_f64 v[21:22], v[174:175], v[62:63]
	v_mul_f64 v[39:40], v[178:179], v[52:53]
	v_fma_f64 v[29:30], v[164:165], v[29:30], -v[35:36]
	v_mul_f64 v[35:36], v[186:187], v[58:59]
	v_fma_f64 v[41:42], v[176:177], v[52:53], v[19:20]
	v_mul_f64 v[19:20], v[186:187], v[56:57]
	v_fma_f64 v[23:24], v[164:165], v[27:28], v[23:24]
	v_fma_f64 v[43:44], v[172:173], v[60:61], v[21:22]
	v_add_f64 v[21:22], v[10:11], v[17:18]
	v_mul_f64 v[27:28], v[174:175], v[60:61]
	v_fma_f64 v[39:40], v[176:177], v[54:55], -v[39:40]
	v_fma_f64 v[35:36], v[184:185], v[56:57], v[35:36]
	s_waitcnt lgkmcnt(0)
	v_mul_f64 v[52:53], v[182:183], v[64:65]
	v_add_f64 v[54:55], v[2:3], v[10:11]
	v_fma_f64 v[58:59], v[184:185], v[58:59], -v[19:20]
	v_add_f64 v[19:20], v[12:13], v[25:26]
	v_add_f64 v[56:57], v[12:13], -v[25:26]
	v_add_f64 v[12:13], v[4:5], v[12:13]
	v_fma_f64 v[21:22], v[21:22], -0.5, v[2:3]
	v_fma_f64 v[45:46], v[172:173], v[62:63], -v[27:28]
	v_mul_f64 v[27:28], v[182:183], v[66:67]
	v_fma_f64 v[62:63], v[180:181], v[66:67], -v[52:53]
	v_add_f64 v[2:3], v[54:55], v[17:18]
	v_fma_f64 v[52:53], v[19:20], -0.5, v[4:5]
	v_add_f64 v[17:18], v[10:11], -v[17:18]
	v_add_f64 v[4:5], v[12:13], v[25:26]
	v_add_f64 v[25:26], v[14:15], v[29:30]
	v_fma_f64 v[10:11], v[56:57], s[0:1], v[21:22]
	v_fma_f64 v[19:20], v[56:57], s[4:5], v[21:22]
	v_add_f64 v[56:57], v[14:15], -v[29:30]
	v_add_f64 v[14:15], v[8:9], v[14:15]
	v_fma_f64 v[60:61], v[180:181], v[64:65], v[27:28]
	v_add_f64 v[27:28], v[37:38], v[23:24]
	v_add_f64 v[54:55], v[6:7], v[37:38]
	v_fma_f64 v[12:13], v[17:18], s[4:5], v[52:53]
	v_add_f64 v[64:65], v[41:42], v[43:44]
	v_fma_f64 v[21:22], v[17:18], s[0:1], v[52:53]
	v_fma_f64 v[17:18], v[25:26], -0.5, v[8:9]
	v_add_f64 v[37:38], v[37:38], -v[23:24]
	v_add_f64 v[8:9], v[14:15], v[29:30]
	v_add_f64 v[14:15], v[39:40], v[45:46]
	v_fma_f64 v[27:28], v[27:28], -0.5, v[6:7]
	v_add_f64 v[6:7], v[54:55], v[23:24]
	v_add_f64 v[52:53], v[31:32], v[41:42]
	v_fma_f64 v[54:55], v[64:65], -0.5, v[31:32]
	v_add_f64 v[64:65], v[39:40], -v[45:46]
	v_fma_f64 v[25:26], v[37:38], s[4:5], v[17:18]
	v_fma_f64 v[29:30], v[37:38], s[0:1], v[17:18]
	v_add_f64 v[17:18], v[35:36], v[60:61]
	v_add_f64 v[37:38], v[58:59], v[62:63]
	;; [unrolled: 1-line block ×3, first 2 shown]
	v_fma_f64 v[14:15], v[14:15], -0.5, v[33:34]
	v_add_f64 v[41:42], v[41:42], -v[43:44]
	v_fma_f64 v[23:24], v[56:57], s[0:1], v[27:28]
	v_fma_f64 v[27:28], v[56:57], s[4:5], v[27:28]
	v_add_f64 v[31:32], v[52:53], v[43:44]
	v_fma_f64 v[52:53], v[64:65], s[0:1], v[54:55]
	v_fma_f64 v[56:57], v[64:65], s[4:5], v[54:55]
	v_add_f64 v[43:44], v[48:49], v[35:36]
	v_fma_f64 v[17:18], v[17:18], -0.5, v[48:49]
	v_add_f64 v[64:65], v[58:59], -v[62:63]
	v_add_f64 v[66:67], v[50:51], v[58:59]
	v_fma_f64 v[37:38], v[37:38], -0.5, v[50:51]
	v_add_f64 v[35:36], v[35:36], -v[60:61]
	v_add_f64 v[33:34], v[39:40], v[45:46]
	v_fma_f64 v[54:55], v[41:42], s[4:5], v[14:15]
	v_fma_f64 v[58:59], v[41:42], s[0:1], v[14:15]
	v_add_f64 v[48:49], v[43:44], v[60:61]
	v_fma_f64 v[60:61], v[64:65], s[0:1], v[17:18]
	v_fma_f64 v[64:65], v[64:65], s[4:5], v[17:18]
	;; [unrolled: 3-line block ×3, first 2 shown]
	ds_write_b128 v16, v[2:5]
	ds_write_b128 v16, v[10:13] offset:4992
	ds_write_b128 v251, v[19:22] offset:9984
	;; [unrolled: 1-line block ×11, first 2 shown]
	s_waitcnt lgkmcnt(0)
	s_barrier
	ds_read_b128 v[2:5], v16
	ds_read_b128 v[6:9], v16 offset:1248
	buffer_load_dword v17, off, s[52:55], 0 offset:176 ; 4-byte Folded Reload
	buffer_load_dword v18, off, s[52:55], 0 offset:180 ; 4-byte Folded Reload
	;; [unrolled: 1-line block ×4, first 2 shown]
	v_mad_u64_u32 v[21:22], s[0:1], s8, v255, 0
	s_waitcnt lgkmcnt(1)
	v_mad_u64_u32 v[12:13], s[0:1], s11, v236, v[1:2]
	s_mov_b32 s0, 0x11811812
	s_mov_b32 s1, 0x3f518118
	v_mov_b32_e32 v1, v12
	v_lshlrev_b64 v[0:1], 4, v[0:1]
	v_mov_b32_e32 v25, s3
	v_add_co_u32_e32 v26, vcc, s2, v0
	v_addc_co_u32_e32 v25, vcc, v25, v1, vcc
	s_mul_i32 s2, s9, 0x1d40
	s_mul_hi_u32 s3, s8, 0x1d40
	s_add_i32 s2, s3, s2
	s_mul_i32 s3, s8, 0x1d40
	s_waitcnt vmcnt(0)
	v_mul_f64 v[10:11], v[19:20], v[4:5]
	v_mul_f64 v[13:14], v[19:20], v[2:3]
	v_fma_f64 v[2:3], v[17:18], v[2:3], v[10:11]
	v_mov_b32_e32 v10, v22
	v_fma_f64 v[4:5], v[17:18], v[4:5], -v[13:14]
	v_mad_u64_u32 v[14:15], s[4:5], s9, v255, v[10:11]
	ds_read_b128 v[10:13], v16 offset:7488
	ds_read_b128 v[17:20], v16 offset:8736
	buffer_load_dword v27, off, s[52:55], 0 ; 4-byte Folded Reload
	buffer_load_dword v28, off, s[52:55], 0 offset:4 ; 4-byte Folded Reload
	buffer_load_dword v29, off, s[52:55], 0 offset:8 ; 4-byte Folded Reload
	;; [unrolled: 1-line block ×3, first 2 shown]
	v_mov_b32_e32 v22, v14
	v_mul_f64 v[2:3], v[2:3], s[0:1]
	v_mul_f64 v[4:5], v[4:5], s[0:1]
	v_lshlrev_b64 v[0:1], 4, v[21:22]
	s_mul_hi_u32 s5, s8, 0xffffe7a0
	s_mul_i32 s4, s9, 0xffffe7a0
	s_sub_i32 s5, s5, s8
	s_add_i32 s5, s5, s4
	s_mul_i32 s4, s8, 0xffffe7a0
	s_waitcnt vmcnt(0) lgkmcnt(1)
	v_mul_f64 v[14:15], v[29:30], v[12:13]
	v_mul_f64 v[23:24], v[29:30], v[10:11]
	v_fma_f64 v[10:11], v[27:28], v[10:11], v[14:15]
	v_add_co_u32_e32 v14, vcc, v26, v0
	v_addc_co_u32_e32 v15, vcc, v25, v1, vcc
	global_store_dwordx4 v[14:15], v[2:5], off
	v_fma_f64 v[12:13], v[27:28], v[12:13], -v[23:24]
	buffer_load_dword v23, off, s[52:55], 0 offset:96 ; 4-byte Folded Reload
	buffer_load_dword v24, off, s[52:55], 0 offset:100 ; 4-byte Folded Reload
	;; [unrolled: 1-line block ×4, first 2 shown]
	v_mul_f64 v[0:1], v[10:11], s[0:1]
	v_mul_f64 v[2:3], v[12:13], s[0:1]
	v_add_co_u32_e32 v12, vcc, s3, v14
	s_waitcnt vmcnt(0)
	v_mul_f64 v[4:5], v[25:26], v[8:9]
	v_mul_f64 v[21:22], v[25:26], v[6:7]
	v_fma_f64 v[4:5], v[23:24], v[6:7], v[4:5]
	v_fma_f64 v[6:7], v[23:24], v[8:9], -v[21:22]
	v_mov_b32_e32 v8, s2
	v_addc_co_u32_e32 v13, vcc, v15, v8, vcc
	global_store_dwordx4 v[12:13], v[0:3], off
	buffer_load_dword v21, off, s[52:55], 0 offset:112 ; 4-byte Folded Reload
	buffer_load_dword v22, off, s[52:55], 0 offset:116 ; 4-byte Folded Reload
	;; [unrolled: 1-line block ×4, first 2 shown]
	v_mul_f64 v[0:1], v[4:5], s[0:1]
	v_mul_f64 v[2:3], v[6:7], s[0:1]
	ds_read_b128 v[4:7], v16 offset:2496
	s_waitcnt vmcnt(0) lgkmcnt(1)
	v_mul_f64 v[8:9], v[23:24], v[19:20]
	v_mul_f64 v[10:11], v[23:24], v[17:18]
	v_mov_b32_e32 v24, s5
	v_add_co_u32_e32 v23, vcc, s4, v12
	v_addc_co_u32_e32 v24, vcc, v13, v24, vcc
	v_fma_f64 v[14:15], v[21:22], v[17:18], v[8:9]
	v_fma_f64 v[17:18], v[21:22], v[19:20], -v[10:11]
	ds_read_b128 v[8:11], v16 offset:3744
	buffer_load_dword v25, off, s[52:55], 0 offset:160 ; 4-byte Folded Reload
	buffer_load_dword v26, off, s[52:55], 0 offset:164 ; 4-byte Folded Reload
	;; [unrolled: 1-line block ×4, first 2 shown]
	s_waitcnt vmcnt(0) lgkmcnt(1)
	v_mul_f64 v[19:20], v[27:28], v[6:7]
	v_mul_f64 v[21:22], v[27:28], v[4:5]
	global_store_dwordx4 v[23:24], v[0:3], off
	v_mov_b32_e32 v27, s2
	v_mul_f64 v[0:1], v[14:15], s[0:1]
	v_mul_f64 v[2:3], v[17:18], s[0:1]
	ds_read_b128 v[12:15], v16 offset:9984
	v_add_co_u32_e32 v23, vcc, s3, v23
	v_fma_f64 v[17:18], v[25:26], v[4:5], v[19:20]
	v_fma_f64 v[19:20], v[25:26], v[6:7], -v[21:22]
	ds_read_b128 v[4:7], v16 offset:11232
	buffer_load_dword v28, off, s[52:55], 0 offset:32 ; 4-byte Folded Reload
	buffer_load_dword v29, off, s[52:55], 0 offset:36 ; 4-byte Folded Reload
	;; [unrolled: 1-line block ×4, first 2 shown]
	v_addc_co_u32_e32 v24, vcc, v24, v27, vcc
	global_store_dwordx4 v[23:24], v[0:3], off
	v_mov_b32_e32 v27, s5
	v_mul_f64 v[0:1], v[17:18], s[0:1]
	v_mul_f64 v[2:3], v[19:20], s[0:1]
	s_waitcnt vmcnt(1) lgkmcnt(1)
	v_mul_f64 v[21:22], v[30:31], v[14:15]
	v_mul_f64 v[25:26], v[30:31], v[12:13]
	v_fma_f64 v[12:13], v[28:29], v[12:13], v[21:22]
	v_fma_f64 v[14:15], v[28:29], v[14:15], -v[25:26]
	buffer_load_dword v28, off, s[52:55], 0 offset:80 ; 4-byte Folded Reload
	buffer_load_dword v29, off, s[52:55], 0 offset:84 ; 4-byte Folded Reload
	;; [unrolled: 1-line block ×4, first 2 shown]
	v_add_co_u32_e32 v21, vcc, s4, v23
	v_addc_co_u32_e32 v22, vcc, v24, v27, vcc
	global_store_dwordx4 v[21:22], v[0:3], off
	buffer_load_dword v24, off, s[52:55], 0 offset:64 ; 4-byte Folded Reload
	buffer_load_dword v25, off, s[52:55], 0 offset:68 ; 4-byte Folded Reload
	;; [unrolled: 1-line block ×4, first 2 shown]
	v_mul_f64 v[0:1], v[12:13], s[0:1]
	v_mul_f64 v[2:3], v[14:15], s[0:1]
	v_mov_b32_e32 v23, s2
	s_waitcnt vmcnt(5)
	v_mul_f64 v[17:18], v[30:31], v[10:11]
	v_mul_f64 v[19:20], v[30:31], v[8:9]
	s_waitcnt vmcnt(0) lgkmcnt(0)
	v_mul_f64 v[12:13], v[26:27], v[6:7]
	v_mul_f64 v[14:15], v[26:27], v[4:5]
	v_fma_f64 v[8:9], v[28:29], v[8:9], v[17:18]
	v_fma_f64 v[10:11], v[28:29], v[10:11], -v[19:20]
	v_add_co_u32_e32 v17, vcc, s3, v21
	v_addc_co_u32_e32 v18, vcc, v22, v23, vcc
	global_store_dwordx4 v[17:18], v[0:3], off
	v_fma_f64 v[12:13], v[24:25], v[4:5], v[12:13]
	v_mul_f64 v[0:1], v[8:9], s[0:1]
	v_mul_f64 v[2:3], v[10:11], s[0:1]
	ds_read_b128 v[8:11], v16 offset:4992
	v_fma_f64 v[14:15], v[24:25], v[6:7], -v[14:15]
	ds_read_b128 v[4:7], v16 offset:6240
	buffer_load_dword v24, off, s[52:55], 0 offset:144 ; 4-byte Folded Reload
	buffer_load_dword v25, off, s[52:55], 0 offset:148 ; 4-byte Folded Reload
	;; [unrolled: 1-line block ×4, first 2 shown]
	v_mov_b32_e32 v23, s5
	v_add_co_u32_e32 v17, vcc, s4, v17
	v_addc_co_u32_e32 v18, vcc, v18, v23, vcc
	global_store_dwordx4 v[17:18], v[0:3], off
	s_waitcnt vmcnt(1) lgkmcnt(1)
	v_mul_f64 v[19:20], v[26:27], v[10:11]
	v_mul_f64 v[21:22], v[26:27], v[8:9]
	;; [unrolled: 1-line block ×4, first 2 shown]
	ds_read_b128 v[12:15], v16 offset:12480
	v_mov_b32_e32 v27, s2
	v_fma_f64 v[19:20], v[24:25], v[8:9], v[19:20]
	v_fma_f64 v[21:22], v[24:25], v[10:11], -v[21:22]
	ds_read_b128 v[8:11], v16 offset:13728
	buffer_load_dword v28, off, s[52:55], 0 offset:16 ; 4-byte Folded Reload
	buffer_load_dword v29, off, s[52:55], 0 offset:20 ; 4-byte Folded Reload
	;; [unrolled: 1-line block ×4, first 2 shown]
	v_add_co_u32_e32 v16, vcc, s3, v17
	v_addc_co_u32_e32 v17, vcc, v18, v27, vcc
	global_store_dwordx4 v[16:17], v[0:3], off
	v_mov_b32_e32 v18, s5
	v_add_co_u32_e32 v16, vcc, s4, v16
	v_mul_f64 v[0:1], v[19:20], s[0:1]
	v_mul_f64 v[2:3], v[21:22], s[0:1]
	v_addc_co_u32_e32 v17, vcc, v17, v18, vcc
	s_waitcnt vmcnt(1) lgkmcnt(1)
	v_mul_f64 v[23:24], v[30:31], v[14:15]
	v_mul_f64 v[25:26], v[30:31], v[12:13]
	v_fma_f64 v[12:13], v[28:29], v[12:13], v[23:24]
	v_fma_f64 v[14:15], v[28:29], v[14:15], -v[25:26]
	buffer_load_dword v26, off, s[52:55], 0 offset:48 ; 4-byte Folded Reload
	buffer_load_dword v27, off, s[52:55], 0 offset:52 ; 4-byte Folded Reload
	;; [unrolled: 1-line block ×4, first 2 shown]
	s_waitcnt vmcnt(0)
	v_mul_f64 v[18:19], v[28:29], v[6:7]
	v_mul_f64 v[20:21], v[28:29], v[4:5]
	buffer_load_dword v28, off, s[52:55], 0 offset:128 ; 4-byte Folded Reload
	buffer_load_dword v29, off, s[52:55], 0 offset:132 ; 4-byte Folded Reload
	;; [unrolled: 1-line block ×4, first 2 shown]
	v_fma_f64 v[4:5], v[26:27], v[4:5], v[18:19]
	global_store_dwordx4 v[16:17], v[0:3], off
	v_fma_f64 v[6:7], v[26:27], v[6:7], -v[20:21]
	v_mul_f64 v[0:1], v[12:13], s[0:1]
	v_mul_f64 v[2:3], v[14:15], s[0:1]
	v_mov_b32_e32 v13, s2
	v_add_co_u32_e32 v12, vcc, s3, v16
	v_addc_co_u32_e32 v13, vcc, v17, v13, vcc
	v_mov_b32_e32 v14, s5
	global_store_dwordx4 v[12:13], v[0:3], off
	s_nop 0
	v_mul_f64 v[0:1], v[4:5], s[0:1]
	v_mul_f64 v[2:3], v[6:7], s[0:1]
	s_waitcnt vmcnt(2) lgkmcnt(0)
	v_mul_f64 v[22:23], v[30:31], v[10:11]
	v_mul_f64 v[24:25], v[30:31], v[8:9]
	v_fma_f64 v[8:9], v[28:29], v[8:9], v[22:23]
	v_fma_f64 v[10:11], v[28:29], v[10:11], -v[24:25]
	v_mul_f64 v[4:5], v[8:9], s[0:1]
	v_mul_f64 v[6:7], v[10:11], s[0:1]
	v_add_co_u32_e32 v8, vcc, s4, v12
	v_addc_co_u32_e32 v9, vcc, v13, v14, vcc
	global_store_dwordx4 v[8:9], v[0:3], off
	s_nop 0
	v_mov_b32_e32 v1, s2
	v_add_co_u32_e32 v0, vcc, s3, v8
	v_addc_co_u32_e32 v1, vcc, v9, v1, vcc
	global_store_dwordx4 v[0:1], v[4:7], off
.LBB0_10:
	s_endpgm
	.section	.rodata,"a",@progbits
	.p2align	6, 0x0
	.amdhsa_kernel bluestein_single_back_len936_dim1_dp_op_CI_CI
		.amdhsa_group_segment_fixed_size 44928
		.amdhsa_private_segment_fixed_size 324
		.amdhsa_kernarg_size 104
		.amdhsa_user_sgpr_count 6
		.amdhsa_user_sgpr_private_segment_buffer 1
		.amdhsa_user_sgpr_dispatch_ptr 0
		.amdhsa_user_sgpr_queue_ptr 0
		.amdhsa_user_sgpr_kernarg_segment_ptr 1
		.amdhsa_user_sgpr_dispatch_id 0
		.amdhsa_user_sgpr_flat_scratch_init 0
		.amdhsa_user_sgpr_private_segment_size 0
		.amdhsa_uses_dynamic_stack 0
		.amdhsa_system_sgpr_private_segment_wavefront_offset 1
		.amdhsa_system_sgpr_workgroup_id_x 1
		.amdhsa_system_sgpr_workgroup_id_y 0
		.amdhsa_system_sgpr_workgroup_id_z 0
		.amdhsa_system_sgpr_workgroup_info 0
		.amdhsa_system_vgpr_workitem_id 0
		.amdhsa_next_free_vgpr 256
		.amdhsa_next_free_sgpr 56
		.amdhsa_reserve_vcc 1
		.amdhsa_reserve_flat_scratch 0
		.amdhsa_float_round_mode_32 0
		.amdhsa_float_round_mode_16_64 0
		.amdhsa_float_denorm_mode_32 3
		.amdhsa_float_denorm_mode_16_64 3
		.amdhsa_dx10_clamp 1
		.amdhsa_ieee_mode 1
		.amdhsa_fp16_overflow 0
		.amdhsa_exception_fp_ieee_invalid_op 0
		.amdhsa_exception_fp_denorm_src 0
		.amdhsa_exception_fp_ieee_div_zero 0
		.amdhsa_exception_fp_ieee_overflow 0
		.amdhsa_exception_fp_ieee_underflow 0
		.amdhsa_exception_fp_ieee_inexact 0
		.amdhsa_exception_int_div_zero 0
	.end_amdhsa_kernel
	.text
.Lfunc_end0:
	.size	bluestein_single_back_len936_dim1_dp_op_CI_CI, .Lfunc_end0-bluestein_single_back_len936_dim1_dp_op_CI_CI
                                        ; -- End function
	.section	.AMDGPU.csdata,"",@progbits
; Kernel info:
; codeLenInByte = 21896
; NumSgprs: 60
; NumVgprs: 256
; ScratchSize: 324
; MemoryBound: 0
; FloatMode: 240
; IeeeMode: 1
; LDSByteSize: 44928 bytes/workgroup (compile time only)
; SGPRBlocks: 7
; VGPRBlocks: 63
; NumSGPRsForWavesPerEU: 60
; NumVGPRsForWavesPerEU: 256
; Occupancy: 1
; WaveLimiterHint : 1
; COMPUTE_PGM_RSRC2:SCRATCH_EN: 1
; COMPUTE_PGM_RSRC2:USER_SGPR: 6
; COMPUTE_PGM_RSRC2:TRAP_HANDLER: 0
; COMPUTE_PGM_RSRC2:TGID_X_EN: 1
; COMPUTE_PGM_RSRC2:TGID_Y_EN: 0
; COMPUTE_PGM_RSRC2:TGID_Z_EN: 0
; COMPUTE_PGM_RSRC2:TIDIG_COMP_CNT: 0
	.type	__hip_cuid_77e69ff2cd395553,@object ; @__hip_cuid_77e69ff2cd395553
	.section	.bss,"aw",@nobits
	.globl	__hip_cuid_77e69ff2cd395553
__hip_cuid_77e69ff2cd395553:
	.byte	0                               ; 0x0
	.size	__hip_cuid_77e69ff2cd395553, 1

	.ident	"AMD clang version 19.0.0git (https://github.com/RadeonOpenCompute/llvm-project roc-6.4.0 25133 c7fe45cf4b819c5991fe208aaa96edf142730f1d)"
	.section	".note.GNU-stack","",@progbits
	.addrsig
	.addrsig_sym __hip_cuid_77e69ff2cd395553
	.amdgpu_metadata
---
amdhsa.kernels:
  - .args:
      - .actual_access:  read_only
        .address_space:  global
        .offset:         0
        .size:           8
        .value_kind:     global_buffer
      - .actual_access:  read_only
        .address_space:  global
        .offset:         8
        .size:           8
        .value_kind:     global_buffer
      - .actual_access:  read_only
        .address_space:  global
        .offset:         16
        .size:           8
        .value_kind:     global_buffer
      - .actual_access:  read_only
        .address_space:  global
        .offset:         24
        .size:           8
        .value_kind:     global_buffer
      - .actual_access:  read_only
        .address_space:  global
        .offset:         32
        .size:           8
        .value_kind:     global_buffer
      - .offset:         40
        .size:           8
        .value_kind:     by_value
      - .address_space:  global
        .offset:         48
        .size:           8
        .value_kind:     global_buffer
      - .address_space:  global
        .offset:         56
        .size:           8
        .value_kind:     global_buffer
      - .address_space:  global
        .offset:         64
        .size:           8
        .value_kind:     global_buffer
      - .address_space:  global
        .offset:         72
        .size:           8
        .value_kind:     global_buffer
      - .offset:         80
        .size:           4
        .value_kind:     by_value
      - .address_space:  global
        .offset:         88
        .size:           8
        .value_kind:     global_buffer
      - .address_space:  global
        .offset:         96
        .size:           8
        .value_kind:     global_buffer
    .group_segment_fixed_size: 44928
    .kernarg_segment_align: 8
    .kernarg_segment_size: 104
    .language:       OpenCL C
    .language_version:
      - 2
      - 0
    .max_flat_workgroup_size: 234
    .name:           bluestein_single_back_len936_dim1_dp_op_CI_CI
    .private_segment_fixed_size: 324
    .sgpr_count:     60
    .sgpr_spill_count: 0
    .symbol:         bluestein_single_back_len936_dim1_dp_op_CI_CI.kd
    .uniform_work_group_size: 1
    .uses_dynamic_stack: false
    .vgpr_count:     256
    .vgpr_spill_count: 95
    .wavefront_size: 64
amdhsa.target:   amdgcn-amd-amdhsa--gfx906
amdhsa.version:
  - 1
  - 2
...

	.end_amdgpu_metadata
